;; amdgpu-corpus repo=ROCm/rocFFT kind=compiled arch=gfx906 opt=O3
	.text
	.amdgcn_target "amdgcn-amd-amdhsa--gfx906"
	.amdhsa_code_object_version 6
	.protected	fft_rtc_back_len2250_factors_10_3_5_3_5_wgs_90_tpt_90_halfLds_sp_ip_CI_unitstride_sbrr_dirReg ; -- Begin function fft_rtc_back_len2250_factors_10_3_5_3_5_wgs_90_tpt_90_halfLds_sp_ip_CI_unitstride_sbrr_dirReg
	.globl	fft_rtc_back_len2250_factors_10_3_5_3_5_wgs_90_tpt_90_halfLds_sp_ip_CI_unitstride_sbrr_dirReg
	.p2align	8
	.type	fft_rtc_back_len2250_factors_10_3_5_3_5_wgs_90_tpt_90_halfLds_sp_ip_CI_unitstride_sbrr_dirReg,@function
fft_rtc_back_len2250_factors_10_3_5_3_5_wgs_90_tpt_90_halfLds_sp_ip_CI_unitstride_sbrr_dirReg: ; @fft_rtc_back_len2250_factors_10_3_5_3_5_wgs_90_tpt_90_halfLds_sp_ip_CI_unitstride_sbrr_dirReg
; %bb.0:
	s_load_dwordx2 s[12:13], s[4:5], 0x50
	s_load_dwordx4 s[8:11], s[4:5], 0x0
	s_load_dwordx2 s[2:3], s[4:5], 0x18
	v_mul_u32_u24_e32 v1, 0x2d9, v0
	v_add_u32_sdwa v5, s6, v1 dst_sel:DWORD dst_unused:UNUSED_PAD src0_sel:DWORD src1_sel:WORD_1
	v_mov_b32_e32 v3, 0
	s_waitcnt lgkmcnt(0)
	v_cmp_lt_u64_e64 s[0:1], s[10:11], 2
	v_mov_b32_e32 v1, 0
	v_mov_b32_e32 v6, v3
	s_and_b64 vcc, exec, s[0:1]
	v_mov_b32_e32 v2, 0
	s_cbranch_vccnz .LBB0_8
; %bb.1:
	s_load_dwordx2 s[0:1], s[4:5], 0x10
	s_add_u32 s6, s2, 8
	s_addc_u32 s7, s3, 0
	v_mov_b32_e32 v1, 0
	v_mov_b32_e32 v2, 0
	s_waitcnt lgkmcnt(0)
	s_add_u32 s14, s0, 8
	s_addc_u32 s15, s1, 0
	s_mov_b64 s[16:17], 1
.LBB0_2:                                ; =>This Inner Loop Header: Depth=1
	s_load_dwordx2 s[18:19], s[14:15], 0x0
                                        ; implicit-def: $vgpr7_vgpr8
	s_waitcnt lgkmcnt(0)
	v_or_b32_e32 v4, s19, v6
	v_cmp_ne_u64_e32 vcc, 0, v[3:4]
	s_and_saveexec_b64 s[0:1], vcc
	s_xor_b64 s[20:21], exec, s[0:1]
	s_cbranch_execz .LBB0_4
; %bb.3:                                ;   in Loop: Header=BB0_2 Depth=1
	v_cvt_f32_u32_e32 v4, s18
	v_cvt_f32_u32_e32 v7, s19
	s_sub_u32 s0, 0, s18
	s_subb_u32 s1, 0, s19
	v_mac_f32_e32 v4, 0x4f800000, v7
	v_rcp_f32_e32 v4, v4
	v_mul_f32_e32 v4, 0x5f7ffffc, v4
	v_mul_f32_e32 v7, 0x2f800000, v4
	v_trunc_f32_e32 v7, v7
	v_mac_f32_e32 v4, 0xcf800000, v7
	v_cvt_u32_f32_e32 v7, v7
	v_cvt_u32_f32_e32 v4, v4
	v_mul_lo_u32 v8, s0, v7
	v_mul_hi_u32 v9, s0, v4
	v_mul_lo_u32 v11, s1, v4
	v_mul_lo_u32 v10, s0, v4
	v_add_u32_e32 v8, v9, v8
	v_add_u32_e32 v8, v8, v11
	v_mul_hi_u32 v9, v4, v10
	v_mul_lo_u32 v11, v4, v8
	v_mul_hi_u32 v13, v4, v8
	v_mul_hi_u32 v12, v7, v10
	v_mul_lo_u32 v10, v7, v10
	v_mul_hi_u32 v14, v7, v8
	v_add_co_u32_e32 v9, vcc, v9, v11
	v_addc_co_u32_e32 v11, vcc, 0, v13, vcc
	v_mul_lo_u32 v8, v7, v8
	v_add_co_u32_e32 v9, vcc, v9, v10
	v_addc_co_u32_e32 v9, vcc, v11, v12, vcc
	v_addc_co_u32_e32 v10, vcc, 0, v14, vcc
	v_add_co_u32_e32 v8, vcc, v9, v8
	v_addc_co_u32_e32 v9, vcc, 0, v10, vcc
	v_add_co_u32_e32 v4, vcc, v4, v8
	v_addc_co_u32_e32 v7, vcc, v7, v9, vcc
	v_mul_lo_u32 v8, s0, v7
	v_mul_hi_u32 v9, s0, v4
	v_mul_lo_u32 v10, s1, v4
	v_mul_lo_u32 v11, s0, v4
	v_add_u32_e32 v8, v9, v8
	v_add_u32_e32 v8, v8, v10
	v_mul_lo_u32 v12, v4, v8
	v_mul_hi_u32 v13, v4, v11
	v_mul_hi_u32 v14, v4, v8
	;; [unrolled: 1-line block ×3, first 2 shown]
	v_mul_lo_u32 v11, v7, v11
	v_mul_hi_u32 v9, v7, v8
	v_add_co_u32_e32 v12, vcc, v13, v12
	v_addc_co_u32_e32 v13, vcc, 0, v14, vcc
	v_mul_lo_u32 v8, v7, v8
	v_add_co_u32_e32 v11, vcc, v12, v11
	v_addc_co_u32_e32 v10, vcc, v13, v10, vcc
	v_addc_co_u32_e32 v9, vcc, 0, v9, vcc
	v_add_co_u32_e32 v8, vcc, v10, v8
	v_addc_co_u32_e32 v9, vcc, 0, v9, vcc
	v_add_co_u32_e32 v4, vcc, v4, v8
	v_addc_co_u32_e32 v9, vcc, v7, v9, vcc
	v_mad_u64_u32 v[7:8], s[0:1], v5, v9, 0
	v_mul_hi_u32 v10, v5, v4
	v_add_co_u32_e32 v11, vcc, v10, v7
	v_addc_co_u32_e32 v12, vcc, 0, v8, vcc
	v_mad_u64_u32 v[7:8], s[0:1], v6, v4, 0
	v_mad_u64_u32 v[9:10], s[0:1], v6, v9, 0
	v_add_co_u32_e32 v4, vcc, v11, v7
	v_addc_co_u32_e32 v4, vcc, v12, v8, vcc
	v_addc_co_u32_e32 v7, vcc, 0, v10, vcc
	v_add_co_u32_e32 v4, vcc, v4, v9
	v_addc_co_u32_e32 v9, vcc, 0, v7, vcc
	v_mul_lo_u32 v10, s19, v4
	v_mul_lo_u32 v11, s18, v9
	v_mad_u64_u32 v[7:8], s[0:1], s18, v4, 0
	v_add3_u32 v8, v8, v11, v10
	v_sub_u32_e32 v10, v6, v8
	v_mov_b32_e32 v11, s19
	v_sub_co_u32_e32 v7, vcc, v5, v7
	v_subb_co_u32_e64 v10, s[0:1], v10, v11, vcc
	v_subrev_co_u32_e64 v11, s[0:1], s18, v7
	v_subbrev_co_u32_e64 v10, s[0:1], 0, v10, s[0:1]
	v_cmp_le_u32_e64 s[0:1], s19, v10
	v_cndmask_b32_e64 v12, 0, -1, s[0:1]
	v_cmp_le_u32_e64 s[0:1], s18, v11
	v_cndmask_b32_e64 v11, 0, -1, s[0:1]
	v_cmp_eq_u32_e64 s[0:1], s19, v10
	v_cndmask_b32_e64 v10, v12, v11, s[0:1]
	v_add_co_u32_e64 v11, s[0:1], 2, v4
	v_addc_co_u32_e64 v12, s[0:1], 0, v9, s[0:1]
	v_add_co_u32_e64 v13, s[0:1], 1, v4
	v_addc_co_u32_e64 v14, s[0:1], 0, v9, s[0:1]
	v_subb_co_u32_e32 v8, vcc, v6, v8, vcc
	v_cmp_ne_u32_e64 s[0:1], 0, v10
	v_cmp_le_u32_e32 vcc, s19, v8
	v_cndmask_b32_e64 v10, v14, v12, s[0:1]
	v_cndmask_b32_e64 v12, 0, -1, vcc
	v_cmp_le_u32_e32 vcc, s18, v7
	v_cndmask_b32_e64 v7, 0, -1, vcc
	v_cmp_eq_u32_e32 vcc, s19, v8
	v_cndmask_b32_e32 v7, v12, v7, vcc
	v_cmp_ne_u32_e32 vcc, 0, v7
	v_cndmask_b32_e64 v7, v13, v11, s[0:1]
	v_cndmask_b32_e32 v8, v9, v10, vcc
	v_cndmask_b32_e32 v7, v4, v7, vcc
.LBB0_4:                                ;   in Loop: Header=BB0_2 Depth=1
	s_andn2_saveexec_b64 s[0:1], s[20:21]
	s_cbranch_execz .LBB0_6
; %bb.5:                                ;   in Loop: Header=BB0_2 Depth=1
	v_cvt_f32_u32_e32 v4, s18
	s_sub_i32 s20, 0, s18
	v_rcp_iflag_f32_e32 v4, v4
	v_mul_f32_e32 v4, 0x4f7ffffe, v4
	v_cvt_u32_f32_e32 v4, v4
	v_mul_lo_u32 v7, s20, v4
	v_mul_hi_u32 v7, v4, v7
	v_add_u32_e32 v4, v4, v7
	v_mul_hi_u32 v4, v5, v4
	v_mul_lo_u32 v7, v4, s18
	v_add_u32_e32 v8, 1, v4
	v_sub_u32_e32 v7, v5, v7
	v_subrev_u32_e32 v9, s18, v7
	v_cmp_le_u32_e32 vcc, s18, v7
	v_cndmask_b32_e32 v7, v7, v9, vcc
	v_cndmask_b32_e32 v4, v4, v8, vcc
	v_add_u32_e32 v8, 1, v4
	v_cmp_le_u32_e32 vcc, s18, v7
	v_cndmask_b32_e32 v7, v4, v8, vcc
	v_mov_b32_e32 v8, v3
.LBB0_6:                                ;   in Loop: Header=BB0_2 Depth=1
	s_or_b64 exec, exec, s[0:1]
	v_mul_lo_u32 v4, v8, s18
	v_mul_lo_u32 v11, v7, s19
	v_mad_u64_u32 v[9:10], s[0:1], v7, s18, 0
	s_load_dwordx2 s[0:1], s[6:7], 0x0
	s_add_u32 s16, s16, 1
	v_add3_u32 v4, v10, v11, v4
	v_sub_co_u32_e32 v5, vcc, v5, v9
	v_subb_co_u32_e32 v4, vcc, v6, v4, vcc
	s_waitcnt lgkmcnt(0)
	v_mul_lo_u32 v4, s0, v4
	v_mul_lo_u32 v6, s1, v5
	v_mad_u64_u32 v[1:2], s[0:1], s0, v5, v[1:2]
	s_addc_u32 s17, s17, 0
	s_add_u32 s6, s6, 8
	v_add3_u32 v2, v6, v2, v4
	v_mov_b32_e32 v4, s10
	v_mov_b32_e32 v5, s11
	s_addc_u32 s7, s7, 0
	v_cmp_ge_u64_e32 vcc, s[16:17], v[4:5]
	s_add_u32 s14, s14, 8
	s_addc_u32 s15, s15, 0
	s_cbranch_vccnz .LBB0_9
; %bb.7:                                ;   in Loop: Header=BB0_2 Depth=1
	v_mov_b32_e32 v5, v7
	v_mov_b32_e32 v6, v8
	s_branch .LBB0_2
.LBB0_8:
	v_mov_b32_e32 v8, v6
	v_mov_b32_e32 v7, v5
.LBB0_9:
	s_lshl_b64 s[0:1], s[10:11], 3
	s_add_u32 s0, s2, s0
	s_addc_u32 s1, s3, s1
	s_load_dwordx2 s[2:3], s[0:1], 0x0
	s_load_dwordx2 s[6:7], s[4:5], 0x20
                                        ; implicit-def: $vgpr41
                                        ; implicit-def: $vgpr15
                                        ; implicit-def: $vgpr35
                                        ; implicit-def: $vgpr13
                                        ; implicit-def: $vgpr31
                                        ; implicit-def: $vgpr11
                                        ; implicit-def: $vgpr17
                                        ; implicit-def: $vgpr9
                                        ; implicit-def: $vgpr23
                                        ; implicit-def: $vgpr37
                                        ; implicit-def: $vgpr19
                                        ; implicit-def: $vgpr25
                                        ; implicit-def: $vgpr21
                                        ; implicit-def: $vgpr29
                                        ; implicit-def: $vgpr39
                                        ; implicit-def: $vgpr43
                                        ; implicit-def: $vgpr33
                                        ; implicit-def: $vgpr27
                                        ; implicit-def: $vgpr53
                                        ; implicit-def: $vgpr57
                                        ; implicit-def: $vgpr49
                                        ; implicit-def: $vgpr47
                                        ; implicit-def: $vgpr51
                                        ; implicit-def: $vgpr45
                                        ; implicit-def: $vgpr61
                                        ; implicit-def: $vgpr63
                                        ; implicit-def: $vgpr59
                                        ; implicit-def: $vgpr55
	s_waitcnt lgkmcnt(0)
	v_mad_u64_u32 v[1:2], s[0:1], s2, v7, v[1:2]
	v_mul_lo_u32 v3, s2, v8
	v_mul_lo_u32 v4, s3, v7
	s_mov_b32 s0, 0x2d82d83
	v_mul_hi_u32 v5, v0, s0
	v_cmp_gt_u64_e64 s[0:1], s[6:7], v[7:8]
	v_add3_u32 v2, v4, v2, v3
	v_lshlrev_b64 v[2:3], 3, v[1:2]
	v_mul_u32_u24_e32 v4, 0x5a, v5
	v_sub_u32_e32 v0, v0, v4
                                        ; implicit-def: $vgpr7
                                        ; implicit-def: $vgpr5
	s_and_saveexec_b64 s[2:3], s[0:1]
	s_cbranch_execz .LBB0_13
; %bb.10:
	v_mov_b32_e32 v1, 0
	v_mov_b32_e32 v4, s13
	v_add_co_u32_e32 v6, vcc, s12, v2
	v_addc_co_u32_e32 v7, vcc, v4, v3, vcc
	v_lshlrev_b64 v[4:5], 3, v[0:1]
                                        ; implicit-def: $vgpr16
                                        ; implicit-def: $vgpr10
                                        ; implicit-def: $vgpr30
                                        ; implicit-def: $vgpr12
                                        ; implicit-def: $vgpr34
                                        ; implicit-def: $vgpr14
                                        ; implicit-def: $vgpr40
	v_add_co_u32_e32 v64, vcc, v6, v4
	v_addc_co_u32_e32 v65, vcc, v7, v5, vcc
	v_add_co_u32_e32 v4, vcc, 0x1000, v64
	v_addc_co_u32_e32 v5, vcc, 0, v65, vcc
	;; [unrolled: 2-line block ×4, first 2 shown]
	global_load_dwordx2 v[44:45], v[4:5], off offset:3104
	global_load_dwordx2 v[46:47], v[6:7], off offset:2608
	;; [unrolled: 1-line block ×8, first 2 shown]
	v_add_co_u32_e32 v6, vcc, 0x4000, v64
	v_addc_co_u32_e32 v7, vcc, 0, v65, vcc
	global_load_dwordx2 v[56:57], v[8:9], off offset:2112
	global_load_dwordx2 v[22:23], v[6:7], off offset:536
	;; [unrolled: 1-line block ×8, first 2 shown]
	global_load_dwordx2 v[54:55], v[64:65], off
	global_load_dwordx2 v[32:33], v[64:65], off offset:2520
	global_load_dwordx2 v[58:59], v[64:65], off offset:1800
	;; [unrolled: 1-line block ×3, first 2 shown]
	v_cmp_gt_u32_e32 vcc, 45, v0
                                        ; implicit-def: $vgpr4
                                        ; implicit-def: $vgpr6
                                        ; implicit-def: $vgpr8
	s_and_saveexec_b64 s[4:5], vcc
	s_cbranch_execz .LBB0_12
; %bb.11:
	v_add_co_u32_e32 v10, vcc, 0x1000, v64
	v_addc_co_u32_e32 v11, vcc, 0, v65, vcc
	v_add_co_u32_e32 v14, vcc, 0x2000, v64
	v_addc_co_u32_e32 v15, vcc, 0, v65, vcc
	v_add_co_u32_e32 v66, vcc, 0x3000, v64
	global_load_dwordx2 v[4:5], v[64:65], off offset:1440
	global_load_dwordx2 v[6:7], v[64:65], off offset:3240
	;; [unrolled: 1-line block ×4, first 2 shown]
	v_addc_co_u32_e32 v67, vcc, 0, v65, vcc
	global_load_dwordx2 v[10:11], v[14:15], off offset:448
	global_load_dwordx2 v[30:31], v[14:15], off offset:2248
	;; [unrolled: 1-line block ×4, first 2 shown]
	v_add_co_u32_e32 v64, vcc, 0x4000, v64
	v_addc_co_u32_e32 v65, vcc, 0, v65, vcc
	global_load_dwordx2 v[14:15], v[66:67], off offset:3552
	global_load_dwordx2 v[40:41], v[64:65], off offset:1256
.LBB0_12:
	s_or_b64 exec, exec, s[4:5]
.LBB0_13:
	s_or_b64 exec, exec, s[2:3]
	s_waitcnt vmcnt(12)
	v_add_f32_e32 v64, v24, v28
	s_waitcnt vmcnt(0)
	v_fma_f32 v68, -0.5, v64, v26
	v_sub_f32_e32 v64, v42, v28
	v_sub_f32_e32 v65, v36, v24
	v_add_f32_e32 v71, v65, v64
	v_add_f32_e32 v64, v36, v42
	;; [unrolled: 1-line block ×3, first 2 shown]
	v_fmac_f32_e32 v26, -0.5, v64
	v_sub_f32_e32 v64, v28, v42
	v_sub_f32_e32 v65, v24, v36
	;; [unrolled: 1-line block ×3, first 2 shown]
	v_mov_b32_e32 v72, v26
	v_add_f32_e32 v64, v65, v64
	v_add_f32_e32 v65, v18, v20
	v_sub_f32_e32 v69, v43, v37
	v_fmac_f32_e32 v72, 0x3f737871, v70
	v_fmac_f32_e32 v26, 0xbf737871, v70
	v_fma_f32 v91, -0.5, v65, v32
	v_sub_f32_e32 v65, v38, v20
	v_sub_f32_e32 v66, v22, v18
	v_fmac_f32_e32 v72, 0xbf167918, v69
	v_fmac_f32_e32 v26, 0x3f167918, v69
	v_add_f32_e32 v73, v66, v65
	v_add_f32_e32 v65, v22, v38
	v_fmac_f32_e32 v72, 0x3e9e377a, v64
	v_fmac_f32_e32 v26, 0x3e9e377a, v64
	v_add_f32_e32 v64, v38, v32
	v_fmac_f32_e32 v32, -0.5, v65
	v_sub_f32_e32 v74, v21, v19
	v_mov_b32_e32 v92, v32
	v_sub_f32_e32 v65, v20, v38
	v_sub_f32_e32 v66, v18, v22
	v_fmac_f32_e32 v92, 0x3f737871, v74
	v_sub_f32_e32 v75, v39, v23
	v_fmac_f32_e32 v32, 0xbf737871, v74
	v_add_f32_e32 v65, v66, v65
	v_fmac_f32_e32 v92, 0xbf167918, v75
	v_fmac_f32_e32 v32, 0x3f167918, v75
	;; [unrolled: 1-line block ×4, first 2 shown]
	v_sub_f32_e32 v65, v39, v21
	v_sub_f32_e32 v66, v23, v19
	;; [unrolled: 1-line block ×3, first 2 shown]
	v_add_f32_e32 v20, v20, v64
	v_add_f32_e32 v76, v66, v65
	v_sub_f32_e32 v65, v21, v39
	v_sub_f32_e32 v66, v19, v23
	v_add_f32_e32 v18, v18, v20
	v_add_f32_e32 v65, v66, v65
	;; [unrolled: 1-line block ×5, first 2 shown]
	v_fma_f32 v93, -0.5, v66, v33
	v_fma_f32 v18, -0.5, v18, v33
	v_mov_b32_e32 v94, v93
	v_sub_f32_e32 v78, v38, v22
	v_mov_b32_e32 v22, v18
	v_fmac_f32_e32 v94, 0xbf737871, v77
	v_fmac_f32_e32 v93, 0x3f737871, v77
	v_mov_b32_e32 v20, v91
	v_fmac_f32_e32 v22, 0x3f737871, v78
	v_fmac_f32_e32 v94, 0x3f167918, v78
	;; [unrolled: 1-line block ×3, first 2 shown]
	v_mov_b32_e32 v79, v68
	v_fmac_f32_e32 v20, 0xbf737871, v75
	v_fmac_f32_e32 v22, 0x3f167918, v77
	;; [unrolled: 1-line block ×5, first 2 shown]
	v_add_f32_e32 v1, v28, v1
	v_fmac_f32_e32 v79, 0xbf737871, v69
	v_fmac_f32_e32 v20, 0xbf167918, v74
	;; [unrolled: 1-line block ×5, first 2 shown]
	v_add_f32_e32 v1, v24, v1
	v_fmac_f32_e32 v79, 0xbf167918, v70
	v_fmac_f32_e32 v20, 0x3e9e377a, v73
	v_mul_f32_e32 v81, 0xbf167918, v22
	v_mul_f32_e32 v82, 0xbf737871, v94
	;; [unrolled: 1-line block ×3, first 2 shown]
	v_mul_u32_u24_e32 v38, 10, v0
	v_fmac_f32_e32 v68, 0x3f737871, v69
	v_fmac_f32_e32 v91, 0x3f167918, v74
	;; [unrolled: 1-line block ×3, first 2 shown]
	v_add_f32_e32 v1, v36, v1
	v_fmac_f32_e32 v79, 0x3e9e377a, v71
	v_fmac_f32_e32 v81, 0x3f4f1bbd, v20
	;; [unrolled: 1-line block ×4, first 2 shown]
	v_lshl_add_u32 v38, v38, 2, 0
	v_fmac_f32_e32 v68, 0x3f167918, v70
	v_fmac_f32_e32 v91, 0x3e9e377a, v73
	v_mul_f32_e32 v69, 0xbf167918, v18
	v_add_f32_e32 v64, v80, v1
	v_add_f32_e32 v65, v79, v81
	;; [unrolled: 1-line block ×4, first 2 shown]
	v_add_u32_e32 v84, 0xe10, v38
	v_fmac_f32_e32 v68, 0x3e9e377a, v71
	v_fmac_f32_e32 v69, 0xbf4f1bbd, v91
	ds_write2_b64 v84, v[64:65], v[66:67] offset1:1
	v_sub_f32_e32 v64, v79, v81
	v_sub_f32_e32 v65, v72, v82
	;; [unrolled: 1-line block ×3, first 2 shown]
	v_add_f32_e32 v66, v68, v69
	v_add_u32_e32 v1, 0xe20, v38
	ds_write2_b64 v1, v[66:67], v[64:65] offset1:1
	v_sub_f32_e32 v1, v62, v44
	v_sub_f32_e32 v64, v56, v46
	v_add_f32_e32 v1, v64, v1
	v_add_f32_e32 v64, v46, v44
	;; [unrolled: 1-line block ×3, first 2 shown]
	v_fma_f32 v70, -0.5, v64, v54
	v_add_f32_e32 v64, v62, v54
	v_fmac_f32_e32 v54, -0.5, v65
	v_sub_f32_e32 v71, v45, v47
	v_mov_b32_e32 v72, v54
	v_sub_f32_e32 v65, v44, v62
	v_sub_f32_e32 v66, v46, v56
	v_fmac_f32_e32 v72, 0x3f737871, v71
	v_sub_f32_e32 v73, v63, v57
	v_fmac_f32_e32 v54, 0xbf737871, v71
	v_add_f32_e32 v65, v66, v65
	v_fmac_f32_e32 v72, 0xbf167918, v73
	v_fmac_f32_e32 v54, 0x3f167918, v73
	;; [unrolled: 1-line block ×4, first 2 shown]
	v_sub_f32_e32 v65, v60, v50
	v_sub_f32_e32 v66, v52, v48
	v_add_f32_e32 v74, v66, v65
	v_add_f32_e32 v65, v48, v50
	;; [unrolled: 1-line block ×3, first 2 shown]
	v_fma_f32 v95, -0.5, v65, v58
	v_add_f32_e32 v65, v60, v58
	v_fmac_f32_e32 v58, -0.5, v66
	v_sub_f32_e32 v75, v51, v49
	v_mov_b32_e32 v96, v58
	v_sub_f32_e32 v66, v50, v60
	v_sub_f32_e32 v67, v48, v52
	v_fmac_f32_e32 v96, 0x3f737871, v75
	v_sub_f32_e32 v76, v61, v53
	v_fmac_f32_e32 v58, 0xbf737871, v75
	v_add_f32_e32 v66, v67, v66
	v_fmac_f32_e32 v96, 0xbf167918, v76
	v_fmac_f32_e32 v58, 0x3f167918, v76
	;; [unrolled: 1-line block ×4, first 2 shown]
	v_sub_f32_e32 v66, v61, v51
	v_sub_f32_e32 v67, v53, v49
	v_add_f32_e32 v77, v67, v66
	v_sub_f32_e32 v66, v51, v61
	v_sub_f32_e32 v67, v49, v53
	;; [unrolled: 1-line block ×3, first 2 shown]
	v_add_f32_e32 v50, v50, v65
	v_add_f32_e32 v66, v67, v66
	;; [unrolled: 1-line block ×5, first 2 shown]
	v_fma_f32 v97, -0.5, v67, v59
	v_fma_f32 v99, -0.5, v50, v59
	v_mov_b32_e32 v98, v97
	v_sub_f32_e32 v60, v60, v52
	v_mov_b32_e32 v101, v99
	v_fmac_f32_e32 v98, 0xbf737871, v78
	v_fmac_f32_e32 v97, 0x3f737871, v78
	v_mov_b32_e32 v100, v95
	v_fmac_f32_e32 v101, 0x3f737871, v60
	v_fmac_f32_e32 v98, 0x3f167918, v60
	;; [unrolled: 1-line block ×3, first 2 shown]
	v_mov_b32_e32 v80, v70
	v_fmac_f32_e32 v100, 0xbf737871, v76
	v_fmac_f32_e32 v101, 0x3f167918, v78
	;; [unrolled: 1-line block ×5, first 2 shown]
	v_add_f32_e32 v64, v44, v64
	v_fmac_f32_e32 v80, 0xbf737871, v73
	v_fmac_f32_e32 v100, 0xbf167918, v75
	;; [unrolled: 1-line block ×6, first 2 shown]
	v_add_f32_e32 v64, v46, v64
	v_fmac_f32_e32 v80, 0xbf167918, v71
	v_add_f32_e32 v48, v52, v48
	v_fmac_f32_e32 v100, 0x3e9e377a, v74
	v_mul_f32_e32 v50, 0xbf167918, v101
	v_mul_f32_e32 v52, 0xbf737871, v98
	;; [unrolled: 1-line block ×3, first 2 shown]
	v_fmac_f32_e32 v70, 0x3f167918, v71
	v_fmac_f32_e32 v95, 0x3f167918, v75
	;; [unrolled: 1-line block ×3, first 2 shown]
	v_add_f32_e32 v79, v56, v64
	v_fmac_f32_e32 v80, 0x3e9e377a, v1
	v_fmac_f32_e32 v50, 0x3f4f1bbd, v100
	;; [unrolled: 1-line block ×6, first 2 shown]
	v_mul_f32_e32 v1, 0xbf167918, v99
	v_add_f32_e32 v64, v48, v79
	v_add_f32_e32 v65, v80, v50
	;; [unrolled: 1-line block ×4, first 2 shown]
	v_fmac_f32_e32 v1, 0xbf4f1bbd, v95
	ds_write2_b64 v38, v[64:65], v[66:67] offset1:1
	v_sub_f32_e32 v64, v80, v50
	v_sub_f32_e32 v65, v72, v52
	;; [unrolled: 1-line block ×3, first 2 shown]
	v_add_f32_e32 v66, v70, v1
	ds_write2_b64 v38, v[66:67], v[64:65] offset0:2 offset1:3
	v_sub_f32_e32 v65, v70, v1
	v_sub_f32_e32 v64, v54, v81
	ds_write_b64 v38, v[64:65] offset:32
	v_sub_f32_e32 v64, v26, v83
	v_sub_f32_e32 v1, v8, v10
	;; [unrolled: 1-line block ×3, first 2 shown]
	v_add_f32_e32 v26, v26, v1
	v_add_f32_e32 v1, v12, v10
	v_sub_f32_e32 v65, v68, v69
	v_fma_f32 v68, -0.5, v1, v4
	v_sub_f32_e32 v66, v9, v15
	v_mov_b32_e32 v1, v68
	v_fmac_f32_e32 v1, 0xbf737871, v66
	v_sub_f32_e32 v67, v11, v13
	v_fmac_f32_e32 v68, 0x3f737871, v66
	v_fmac_f32_e32 v1, 0xbf167918, v67
	;; [unrolled: 1-line block ×5, first 2 shown]
	v_sub_f32_e32 v26, v16, v30
	v_sub_f32_e32 v48, v40, v34
	v_add_f32_e32 v26, v48, v26
	v_add_f32_e32 v48, v34, v30
	v_fma_f32 v50, -0.5, v48, v6
	v_sub_f32_e32 v48, v17, v41
	v_mov_b32_e32 v52, v50
	v_fmac_f32_e32 v52, 0xbf737871, v48
	v_sub_f32_e32 v54, v31, v35
	v_fmac_f32_e32 v50, 0x3f737871, v48
	v_fmac_f32_e32 v52, 0xbf167918, v54
	;; [unrolled: 1-line block ×5, first 2 shown]
	v_add_f32_e32 v26, v40, v16
	ds_write_b64 v38, v[64:65] offset:3632
	v_add_f32_e32 v64, v16, v6
	v_fmac_f32_e32 v6, -0.5, v26
	v_sub_f32_e32 v26, v30, v16
	v_sub_f32_e32 v60, v34, v40
	v_add_f32_e32 v60, v60, v26
	v_mov_b32_e32 v26, v6
	v_fmac_f32_e32 v26, 0x3f737871, v54
	v_fmac_f32_e32 v6, 0xbf737871, v54
	;; [unrolled: 1-line block ×4, first 2 shown]
	v_sub_f32_e32 v48, v17, v31
	v_sub_f32_e32 v54, v41, v35
	v_add_f32_e32 v48, v54, v48
	v_add_f32_e32 v54, v35, v31
	v_fma_f32 v54, -0.5, v54, v7
	v_fmac_f32_e32 v26, 0x3e9e377a, v60
	v_fmac_f32_e32 v6, 0x3e9e377a, v60
	v_sub_f32_e32 v65, v16, v40
	v_mov_b32_e32 v60, v54
	v_fmac_f32_e32 v60, 0x3f737871, v65
	v_sub_f32_e32 v69, v30, v34
	v_fmac_f32_e32 v54, 0xbf737871, v65
	v_fmac_f32_e32 v60, 0x3f167918, v69
	;; [unrolled: 1-line block ×5, first 2 shown]
	v_sub_f32_e32 v16, v31, v17
	v_sub_f32_e32 v48, v35, v41
	v_add_f32_e32 v70, v48, v16
	v_add_f32_e32 v16, v41, v17
	v_fma_f32 v16, -0.5, v16, v7
	v_mov_b32_e32 v48, v16
	v_fmac_f32_e32 v48, 0xbf737871, v69
	v_fmac_f32_e32 v16, 0x3f737871, v69
	;; [unrolled: 1-line block ×4, first 2 shown]
	v_add_f32_e32 v65, v8, v4
	v_add_f32_e32 v30, v30, v64
	;; [unrolled: 1-line block ×6, first 2 shown]
	v_mul_f32_e32 v34, 0xbf167918, v60
	v_mul_f32_e32 v40, 0xbf167918, v54
	v_add_f32_e32 v69, v14, v65
	v_fmac_f32_e32 v34, 0x3f4f1bbd, v52
	v_fmac_f32_e32 v40, 0xbf4f1bbd, v50
	;; [unrolled: 1-line block ×4, first 2 shown]
	v_add_f32_e32 v64, v68, v40
	v_sub_f32_e32 v65, v69, v30
	v_cmp_gt_u32_e64 s[2:3], 45, v0
	v_sub_f32_e32 v74, v1, v34
	s_and_saveexec_b64 s[4:5], s[2:3]
	s_cbranch_execz .LBB0_15
; %bb.14:
	v_sub_f32_e32 v71, v68, v40
	v_sub_f32_e32 v40, v10, v8
	;; [unrolled: 1-line block ×3, first 2 shown]
	v_add_f32_e32 v40, v68, v40
	v_add_f32_e32 v68, v14, v8
	v_fmac_f32_e32 v4, -0.5, v68
	v_mov_b32_e32 v68, v4
	v_fmac_f32_e32 v68, 0xbf737871, v67
	v_fmac_f32_e32 v4, 0x3f737871, v67
	;; [unrolled: 1-line block ×5, first 2 shown]
	v_mul_f32_e32 v72, 0xbf737871, v16
	v_fmac_f32_e32 v4, 0x3e9e377a, v40
	v_mul_f32_e32 v40, 0xbf737871, v48
	v_fmac_f32_e32 v72, 0xbe9e377a, v6
	v_fmac_f32_e32 v40, 0x3e9e377a, v26
	v_sub_f32_e32 v70, v68, v72
	v_add_f32_e32 v67, v68, v72
	v_add_f32_e32 v66, v4, v40
	;; [unrolled: 1-line block ×4, first 2 shown]
	v_add_u32_e32 v1, 0x1c20, v38
	v_sub_f32_e32 v75, v4, v40
	ds_write2_b64 v1, v[72:73], v[66:67] offset1:1
	v_add_u32_e32 v1, 0x1c30, v38
	ds_write2_b64 v1, v[64:65], v[74:75] offset1:1
	ds_write_b64 v38, v[70:71] offset:7232
.LBB0_15:
	s_or_b64 exec, exec, s[4:5]
	s_movk_i32 s4, 0xffdc
	v_mad_i32_i24 v1, v0, s4, v38
	v_add_u32_e32 v4, 0xa00, v1
	s_waitcnt lgkmcnt(0)
	s_barrier
	ds_read2_b32 v[87:88], v4 offset0:110 offset1:200
	v_add_u32_e32 v4, 0x1600, v1
	ds_read2_b32 v[89:90], v4 offset0:92 offset1:182
	v_add_u32_e32 v4, 0x200, v1
	;; [unrolled: 2-line block ×10, first 2 shown]
	ds_read2_b32 v[72:73], v1 offset1:90
	ds_read2_b32 v[75:76], v4 offset0:120 offset1:210
	v_cmp_gt_u32_e32 vcc, 30, v0
	s_and_saveexec_b64 s[4:5], vcc
	s_cbranch_execz .LBB0_17
; %bb.16:
	ds_read_b32 v64, v1 offset:2880
	ds_read_b32 v65, v1 offset:5880
	ds_read_b32 v74, v1 offset:8880
.LBB0_17:
	s_or_b64 exec, exec, s[4:5]
	v_add_f32_e32 v30, v47, v45
	v_fma_f32 v30, -0.5, v30, v55
	v_sub_f32_e32 v34, v62, v56
	v_mov_b32_e32 v40, v30
	v_fmac_f32_e32 v40, 0x3f737871, v34
	v_sub_f32_e32 v44, v44, v46
	v_sub_f32_e32 v46, v63, v45
	;; [unrolled: 1-line block ×3, first 2 shown]
	v_fmac_f32_e32 v30, 0xbf737871, v34
	v_fmac_f32_e32 v40, 0x3f167918, v44
	v_add_f32_e32 v46, v56, v46
	v_fmac_f32_e32 v30, 0xbf167918, v44
	v_fmac_f32_e32 v40, 0x3e9e377a, v46
	;; [unrolled: 1-line block ×3, first 2 shown]
	v_add_f32_e32 v46, v57, v63
	v_add_f32_e32 v4, v63, v55
	v_fmac_f32_e32 v55, -0.5, v46
	v_mov_b32_e32 v62, v55
	v_fmac_f32_e32 v62, 0xbf737871, v44
	v_fmac_f32_e32 v55, 0x3f737871, v44
	v_add_f32_e32 v4, v45, v4
	v_fmac_f32_e32 v62, 0x3f167918, v34
	v_sub_f32_e32 v45, v45, v63
	v_sub_f32_e32 v46, v47, v57
	v_fmac_f32_e32 v55, 0xbf167918, v34
	v_add_f32_e32 v34, v61, v59
	s_mov_b32 s4, 0x3f167918
	v_add_f32_e32 v45, v46, v45
	v_add_f32_e32 v34, v51, v34
	v_mul_f32_e32 v51, 0x3f737871, v96
	v_mul_f32_e32 v56, 0x3f4f1bbd, v99
	v_fmac_f32_e32 v62, 0x3e9e377a, v45
	v_fmac_f32_e32 v51, 0x3e9e377a, v98
	v_fma_f32 v63, v95, s4, -v56
	v_add_f32_e32 v4, v47, v4
	v_add_f32_e32 v34, v49, v34
	;; [unrolled: 1-line block ×4, first 2 shown]
	v_sub_f32_e32 v59, v62, v51
	v_sub_f32_e32 v62, v30, v63
	v_add_f32_e32 v30, v25, v29
	v_add_f32_e32 v4, v57, v4
	;; [unrolled: 1-line block ×3, first 2 shown]
	v_mul_f32_e32 v49, 0x3f167918, v100
	v_fma_f32 v30, -0.5, v30, v27
	s_mov_b32 s6, 0x3f737871
	v_add_f32_e32 v44, v34, v4
	v_fmac_f32_e32 v49, 0x3f4f1bbd, v101
	v_mul_f32_e32 v47, 0x3e9e377a, v97
	v_sub_f32_e32 v57, v4, v34
	v_sub_f32_e32 v34, v42, v36
	v_mov_b32_e32 v36, v30
	v_fmac_f32_e32 v55, 0x3e9e377a, v45
	v_add_f32_e32 v45, v40, v49
	v_fma_f32 v53, v58, s6, -v47
	v_sub_f32_e32 v58, v40, v49
	v_fmac_f32_e32 v36, 0x3f737871, v34
	v_sub_f32_e32 v24, v28, v24
	v_sub_f32_e32 v28, v43, v29
	;; [unrolled: 1-line block ×3, first 2 shown]
	v_fmac_f32_e32 v30, 0xbf737871, v34
	v_fmac_f32_e32 v36, 0x3f167918, v24
	v_add_f32_e32 v28, v40, v28
	v_fmac_f32_e32 v30, 0xbf167918, v24
	v_fmac_f32_e32 v36, 0x3e9e377a, v28
	;; [unrolled: 1-line block ×3, first 2 shown]
	v_add_f32_e32 v28, v37, v43
	v_add_f32_e32 v4, v43, v27
	v_fmac_f32_e32 v27, -0.5, v28
	v_mov_b32_e32 v40, v27
	v_fmac_f32_e32 v40, 0xbf737871, v24
	v_fmac_f32_e32 v27, 0x3f737871, v24
	v_add_f32_e32 v24, v39, v33
	v_add_f32_e32 v4, v29, v4
	;; [unrolled: 1-line block ×7, first 2 shown]
	v_sub_f32_e32 v28, v29, v43
	v_sub_f32_e32 v25, v25, v37
	v_add_f32_e32 v23, v19, v4
	v_sub_f32_e32 v33, v4, v19
	v_add_f32_e32 v4, v9, v5
	v_fmac_f32_e32 v40, 0x3f167918, v34
	v_add_f32_e32 v25, v25, v28
	v_mul_f32_e32 v20, 0x3f167918, v20
	v_mul_f32_e32 v21, 0x3f737871, v92
	;; [unrolled: 1-line block ×3, first 2 shown]
	v_add_f32_e32 v4, v11, v4
	v_fmac_f32_e32 v40, 0x3e9e377a, v25
	v_fmac_f32_e32 v20, 0x3f4f1bbd, v22
	;; [unrolled: 1-line block ×3, first 2 shown]
	v_mul_f32_e32 v22, 0x3e9e377a, v93
	v_fma_f32 v18, v91, s4, -v18
	v_add_f32_e32 v4, v13, v4
	v_add_f32_e32 v28, v40, v21
	v_fma_f32 v22, v32, s6, -v22
	v_add_f32_e32 v32, v30, v18
	v_sub_f32_e32 v37, v40, v21
	v_sub_f32_e32 v40, v30, v18
	v_add_f32_e32 v18, v15, v4
	v_add_f32_e32 v4, v13, v11
	v_fma_f32 v4, -0.5, v4, v5
	v_add_f32_e32 v7, v17, v7
	v_sub_f32_e32 v19, v8, v14
	v_mov_b32_e32 v14, v4
	v_add_f32_e32 v7, v31, v7
	v_fmac_f32_e32 v27, 0xbf167918, v34
	v_fmac_f32_e32 v14, 0x3f737871, v19
	v_sub_f32_e32 v12, v10, v12
	v_sub_f32_e32 v8, v9, v11
	;; [unrolled: 1-line block ×3, first 2 shown]
	v_fmac_f32_e32 v4, 0xbf737871, v19
	v_add_f32_e32 v7, v35, v7
	v_fmac_f32_e32 v27, 0x3e9e377a, v25
	v_add_f32_e32 v24, v36, v20
	v_sub_f32_e32 v36, v36, v20
	v_fmac_f32_e32 v14, 0x3f167918, v12
	v_add_f32_e32 v8, v10, v8
	v_fmac_f32_e32 v4, 0xbf167918, v12
	v_add_f32_e32 v20, v41, v7
	v_mul_f32_e32 v21, 0x3f167918, v52
	v_mul_f32_e32 v7, 0x3f4f1bbd, v54
	v_add_f32_e32 v47, v55, v53
	v_add_f32_e32 v29, v27, v22
	v_sub_f32_e32 v39, v27, v22
	v_fmac_f32_e32 v14, 0x3e9e377a, v8
	v_fmac_f32_e32 v4, 0x3e9e377a, v8
	;; [unrolled: 1-line block ×3, first 2 shown]
	v_fma_f32 v17, v50, s4, -v7
	v_add_u32_e32 v22, 0xe10, v38
	v_sub_f32_e32 v61, v55, v53
	v_add_f32_e32 v7, v4, v17
	v_sub_f32_e32 v8, v18, v20
	v_sub_f32_e32 v10, v14, v21
	v_add_u32_e32 v54, 0xb4, v0
	s_waitcnt lgkmcnt(0)
	s_barrier
	ds_write2_b64 v38, v[44:45], v[46:47] offset1:1
	ds_write2_b64 v38, v[56:57], v[58:59] offset0:2 offset1:3
	ds_write_b64 v38, v[61:62] offset:32
	ds_write2_b64 v22, v[23:24], v[28:29] offset1:1
	v_add_u32_e32 v22, 0xe20, v38
	ds_write2_b64 v22, v[32:33], v[36:37] offset1:1
	ds_write_b64 v38, v[39:40] offset:3632
	s_and_saveexec_b64 s[4:5], s[2:3]
	s_cbranch_execz .LBB0_19
; %bb.18:
	v_add_f32_e32 v22, v15, v9
	v_fmac_f32_e32 v5, -0.5, v22
	v_mov_b32_e32 v22, v5
	v_fmac_f32_e32 v22, 0xbf737871, v12
	v_sub_f32_e32 v9, v11, v9
	v_sub_f32_e32 v11, v13, v15
	v_fmac_f32_e32 v5, 0x3f737871, v12
	v_fmac_f32_e32 v22, 0x3f167918, v19
	v_add_f32_e32 v9, v11, v9
	v_fmac_f32_e32 v5, 0xbf167918, v19
	v_mul_f32_e32 v11, 0x3e9e377a, v16
	v_fmac_f32_e32 v22, 0x3e9e377a, v9
	v_fmac_f32_e32 v5, 0x3e9e377a, v9
	v_mul_f32_e32 v9, 0x3f737871, v26
	v_fma_f32 v6, v6, s6, -v11
	v_fmac_f32_e32 v9, 0x3e9e377a, v48
	v_add_f32_e32 v15, v5, v6
	v_sub_f32_e32 v5, v5, v6
	v_sub_f32_e32 v6, v4, v17
	v_mul_u32_u24_e32 v4, 10, v54
	v_add_f32_e32 v12, v20, v18
	v_add_f32_e32 v13, v14, v21
	;; [unrolled: 1-line block ×3, first 2 shown]
	v_lshl_add_u32 v4, v4, 2, 0
	v_sub_f32_e32 v11, v22, v9
	ds_write2_b64 v4, v[12:13], v[14:15] offset1:1
	ds_write2_b64 v4, v[7:8], v[10:11] offset0:2 offset1:3
	ds_write_b64 v4, v[5:6] offset:32
.LBB0_19:
	s_or_b64 exec, exec, s[4:5]
	v_add_u32_e32 v6, 0xa00, v1
	s_waitcnt lgkmcnt(0)
	s_barrier
	ds_read2_b32 v[29:30], v6 offset0:110 offset1:200
	v_add_u32_e32 v6, 0x1600, v1
	ds_read2_b32 v[31:32], v6 offset0:92 offset1:182
	v_add_u32_e32 v6, 0x200, v1
	ds_read2_b32 v[21:22], v6 offset0:52 offset1:142
	v_add_u32_e32 v6, 0xc00, v1
	ds_read2_b32 v[27:28], v6 offset0:162 offset1:252
	v_add_u32_e32 v6, 0x1800, v1
	ds_read2_b32 v[19:20], v6 offset0:144 offset1:234
	v_add_u32_e32 v6, 0x400, v1
	ds_read2_b32 v[23:24], v6 offset0:104 offset1:194
	v_add_u32_e32 v6, 0x1000, v1
	ds_read2_b32 v[17:18], v6 offset0:86 offset1:176
	v_add_u32_e32 v6, 0x1c00, v1
	ds_read2_b32 v[15:16], v6 offset0:68 offset1:158
	v_add_u32_e32 v6, 0x800, v1
	ds_read2_b32 v[25:26], v6 offset0:28 offset1:118
	v_add_u32_e32 v6, 0x1400, v1
	ds_read2_b32 v[13:14], v6 offset0:10 offset1:100
	v_add_u32_e32 v6, 0x1e00, v1
	ds_read2_b32 v[4:5], v1 offset1:90
	ds_read2_b32 v[11:12], v6 offset0:120 offset1:210
	s_and_saveexec_b64 s[2:3], vcc
	s_cbranch_execz .LBB0_21
; %bb.20:
	ds_read_b32 v7, v1 offset:2880
	ds_read_b32 v8, v1 offset:5880
	;; [unrolled: 1-line block ×3, first 2 shown]
.LBB0_21:
	s_or_b64 exec, exec, s[2:3]
	v_add_u32_e32 v57, 0x5a, v0
	s_movk_i32 s2, 0xcd
	v_mul_lo_u16_sdwa v6, v0, s2 dst_sel:DWORD dst_unused:UNUSED_PAD src0_sel:BYTE_0 src1_sel:DWORD
	v_mul_lo_u16_sdwa v33, v57, s2 dst_sel:DWORD dst_unused:UNUSED_PAD src0_sel:BYTE_0 src1_sel:DWORD
	v_lshrrev_b16_e32 v115, 11, v6
	v_lshrrev_b16_e32 v117, 11, v33
	v_mul_lo_u16_e32 v6, 10, v115
	v_mul_lo_u16_e32 v33, 10, v117
	v_sub_u16_e32 v116, v0, v6
	v_mov_b32_e32 v6, 4
	v_sub_u16_e32 v118, v57, v33
	v_lshlrev_b32_sdwa v9, v6, v116 dst_sel:DWORD dst_unused:UNUSED_PAD src0_sel:DWORD src1_sel:BYTE_0
	v_lshlrev_b32_sdwa v6, v6, v118 dst_sel:DWORD dst_unused:UNUSED_PAD src0_sel:DWORD src1_sel:BYTE_0
	s_mov_b32 s2, 0xcccd
	global_load_dwordx4 v[39:42], v9, s[8:9]
	global_load_dwordx4 v[43:46], v6, s[8:9]
	v_mul_u32_u24_sdwa v6, v54, s2 dst_sel:DWORD dst_unused:UNUSED_PAD src0_sel:WORD_0 src1_sel:DWORD
	v_lshrrev_b32_e32 v119, 19, v6
	v_mul_lo_u16_e32 v6, 10, v119
	v_sub_u16_e32 v120, v54, v6
	v_lshlrev_b32_e32 v6, 4, v120
	v_add_u32_e32 v56, 0x10e, v0
	global_load_dwordx4 v[50:53], v6, s[8:9]
	v_mul_u32_u24_sdwa v6, v56, s2 dst_sel:DWORD dst_unused:UNUSED_PAD src0_sel:WORD_0 src1_sel:DWORD
	v_lshrrev_b32_e32 v121, 19, v6
	v_mul_lo_u16_e32 v6, 10, v121
	v_sub_u16_e32 v122, v56, v6
	v_lshlrev_b32_e32 v6, 4, v122
	v_add_u32_e32 v55, 0x168, v0
	;; [unrolled: 7-line block ×6, first 2 shown]
	global_load_dwordx4 v[107:110], v6, s[8:9]
	v_mul_u32_u24_sdwa v6, v61, s2 dst_sel:DWORD dst_unused:UNUSED_PAD src0_sel:WORD_0 src1_sel:DWORD
	v_lshrrev_b32_e32 v131, 19, v6
	v_mul_lo_u16_e32 v6, 10, v131
	v_sub_u16_e32 v132, v61, v6
	v_lshlrev_b32_e32 v6, 4, v132
	global_load_dwordx4 v[111:114], v6, s[8:9]
	s_waitcnt vmcnt(0) lgkmcnt(0)
	s_barrier
	v_mul_f32_e32 v6, v87, v40
	v_mul_f32_e32 v37, v29, v40
	v_fma_f32 v48, v29, v39, -v6
	v_mul_f32_e32 v34, v30, v44
	v_mul_f32_e32 v38, v88, v44
	v_fmac_f32_e32 v37, v87, v39
	v_mul_f32_e32 v40, v31, v42
	v_mul_f32_e32 v36, v89, v42
	;; [unrolled: 1-line block ×5, first 2 shown]
	v_fmac_f32_e32 v34, v88, v43
	v_fma_f32 v46, v30, v43, -v38
	v_fma_f32 v43, v27, v50, -v44
	v_fma_f32 v47, v32, v45, -v42
	v_mul_f32_e32 v6, v86, v92
	v_fma_f32 v39, v28, v91, -v6
	v_mul_f32_e32 v6, v84, v94
	v_fma_f32 v44, v20, v93, -v6
	v_mul_f32_e32 v9, v27, v51
	v_fmac_f32_e32 v40, v89, v41
	v_mul_f32_e32 v51, v83, v53
	v_mul_f32_e32 v6, v81, v96
	v_fma_f32 v32, v17, v95, -v6
	v_mul_f32_e32 v6, v79, v98
	v_fma_f32 v42, v15, v97, -v6
	v_fmac_f32_e32 v9, v85, v50
	v_add_f32_e32 v50, v37, v40
	v_mul_f32_e32 v33, v19, v53
	v_mul_f32_e32 v6, v82, v100
	v_fma_f32 v30, v18, v99, -v6
	v_mul_f32_e32 v6, v80, v102
	v_fma_f32 v49, v31, v41, -v36
	v_fmac_f32_e32 v35, v90, v45
	v_fma_f32 v45, v19, v52, -v51
	v_fma_f32 v41, v16, v101, -v6
	v_mul_f32_e32 v6, v77, v104
	v_fma_f32 v51, -0.5, v50, v72
	v_fmac_f32_e32 v33, v83, v52
	v_mul_f32_e32 v27, v28, v92
	v_fma_f32 v28, v13, v103, -v6
	v_mul_f32_e32 v6, v75, v106
	v_sub_f32_e32 v50, v48, v49
	v_mov_b32_e32 v52, v51
	v_fma_f32 v38, v11, v105, -v6
	v_mul_f32_e32 v6, v78, v108
	v_fmac_f32_e32 v52, 0xbf5db3d7, v50
	v_fmac_f32_e32 v51, 0x3f5db3d7, v50
	v_add_f32_e32 v50, v73, v34
	v_mul_f32_e32 v31, v20, v94
	v_mul_f32_e32 v20, v16, v102
	;; [unrolled: 1-line block ×4, first 2 shown]
	v_fma_f32 v14, v14, v107, -v6
	v_mul_f32_e32 v6, v76, v110
	v_add_f32_e32 v53, v50, v35
	v_add_f32_e32 v50, v34, v35
	v_mul_f32_e32 v29, v15, v98
	v_mul_f32_e32 v15, v13, v104
	;; [unrolled: 1-line block ×3, first 2 shown]
	v_fma_f32 v36, v12, v109, -v6
	v_mul_f32_e32 v12, v8, v112
	v_fmac_f32_e32 v73, -0.5, v50
	v_fmac_f32_e32 v12, v65, v111
	v_mul_f32_e32 v6, v65, v112
	v_sub_f32_e32 v50, v46, v47
	v_mov_b32_e32 v65, v73
	v_fma_f32 v6, v8, v111, -v6
	v_mul_f32_e32 v8, v74, v114
	v_fmac_f32_e32 v65, 0xbf5db3d7, v50
	v_fmac_f32_e32 v73, 0x3f5db3d7, v50
	v_add_f32_e32 v50, v70, v9
	v_mul_f32_e32 v19, v17, v96
	v_mul_f32_e32 v17, v18, v100
	;; [unrolled: 1-line block ×3, first 2 shown]
	v_fma_f32 v8, v10, v113, -v8
	v_add_f32_e32 v10, v72, v37
	v_add_f32_e32 v72, v50, v33
	v_add_f32_e32 v50, v9, v33
	v_fma_f32 v70, -0.5, v50, v70
	v_fmac_f32_e32 v27, v86, v91
	v_fmac_f32_e32 v18, v74, v113
	v_sub_f32_e32 v50, v43, v45
	v_mov_b32_e32 v74, v70
	v_fmac_f32_e32 v31, v84, v93
	v_fmac_f32_e32 v74, 0xbf5db3d7, v50
	;; [unrolled: 1-line block ×3, first 2 shown]
	v_add_f32_e32 v50, v71, v27
	v_fmac_f32_e32 v16, v75, v105
	v_add_f32_e32 v75, v50, v31
	v_add_f32_e32 v50, v27, v31
	v_fmac_f32_e32 v71, -0.5, v50
	v_fmac_f32_e32 v19, v81, v95
	v_fmac_f32_e32 v13, v76, v109
	v_sub_f32_e32 v50, v39, v44
	v_mov_b32_e32 v76, v71
	v_fmac_f32_e32 v29, v79, v97
	v_fmac_f32_e32 v76, 0xbf5db3d7, v50
	;; [unrolled: 1-line block ×3, first 2 shown]
	v_add_f32_e32 v50, v68, v19
	v_fmac_f32_e32 v15, v77, v103
	v_add_f32_e32 v77, v50, v29
	v_add_f32_e32 v50, v19, v29
	v_fmac_f32_e32 v11, v78, v107
	v_fma_f32 v78, -0.5, v50, v68
	v_fmac_f32_e32 v17, v82, v99
	v_sub_f32_e32 v50, v32, v42
	v_mov_b32_e32 v79, v78
	v_fmac_f32_e32 v20, v80, v101
	v_fmac_f32_e32 v79, 0xbf5db3d7, v50
	;; [unrolled: 1-line block ×3, first 2 shown]
	v_add_f32_e32 v50, v69, v17
	v_add_f32_e32 v80, v50, v20
	;; [unrolled: 1-line block ×3, first 2 shown]
	v_fmac_f32_e32 v69, -0.5, v50
	v_sub_f32_e32 v50, v30, v41
	v_mov_b32_e32 v81, v69
	v_fmac_f32_e32 v81, 0xbf5db3d7, v50
	v_fmac_f32_e32 v69, 0x3f5db3d7, v50
	v_add_f32_e32 v50, v66, v15
	v_add_f32_e32 v82, v50, v16
	;; [unrolled: 1-line block ×3, first 2 shown]
	v_fma_f32 v66, -0.5, v50, v66
	v_sub_f32_e32 v50, v28, v38
	v_mov_b32_e32 v83, v66
	v_fmac_f32_e32 v83, 0xbf5db3d7, v50
	v_fmac_f32_e32 v66, 0x3f5db3d7, v50
	v_add_f32_e32 v50, v67, v11
	v_add_f32_e32 v84, v50, v13
	;; [unrolled: 1-line block ×3, first 2 shown]
	v_fmac_f32_e32 v67, -0.5, v50
	v_sub_f32_e32 v50, v14, v36
	v_mov_b32_e32 v85, v67
	v_fmac_f32_e32 v85, 0xbf5db3d7, v50
	v_fmac_f32_e32 v67, 0x3f5db3d7, v50
	v_add_f32_e32 v50, v12, v18
	v_fma_f32 v62, -0.5, v50, v64
	v_sub_f32_e32 v50, v6, v8
	v_mov_b32_e32 v63, v62
	v_mov_b32_e32 v68, 2
	v_fmac_f32_e32 v63, 0xbf5db3d7, v50
	v_fmac_f32_e32 v62, 0x3f5db3d7, v50
	v_mul_u32_u24_e32 v50, 0x78, v115
	v_lshlrev_b32_sdwa v86, v68, v116 dst_sel:DWORD dst_unused:UNUSED_PAD src0_sel:DWORD src1_sel:BYTE_0
	v_add_f32_e32 v10, v10, v40
	v_add3_u32 v50, 0, v50, v86
	ds_write2_b32 v50, v10, v52 offset1:10
	ds_write_b32 v50, v51 offset:80
	v_mul_u32_u24_e32 v10, 0x78, v117
	v_lshlrev_b32_sdwa v51, v68, v118 dst_sel:DWORD dst_unused:UNUSED_PAD src0_sel:DWORD src1_sel:BYTE_0
	v_add3_u32 v51, 0, v10, v51
	v_mul_u32_u24_e32 v10, 0x78, v119
	v_lshlrev_b32_e32 v52, 2, v120
	ds_write2_b32 v51, v53, v65 offset1:10
	ds_write_b32 v51, v73 offset:80
	v_add3_u32 v52, 0, v10, v52
	v_mul_u32_u24_e32 v10, 0x78, v121
	v_lshlrev_b32_e32 v53, 2, v122
	v_add3_u32 v53, 0, v10, v53
	v_mul_u32_u24_e32 v10, 0x78, v123
	v_lshlrev_b32_e32 v65, 2, v124
	;; [unrolled: 3-line block ×3, first 2 shown]
	ds_write2_b32 v52, v72, v74 offset1:10
	ds_write_b32 v52, v70 offset:80
	v_add3_u32 v70, 0, v10, v65
	v_mul_u32_u24_e32 v10, 0x78, v127
	v_lshlrev_b32_e32 v65, 2, v128
	ds_write2_b32 v53, v75, v76 offset1:10
	ds_write_b32 v53, v71 offset:80
	v_add3_u32 v71, 0, v10, v65
	v_mul_u32_u24_e32 v10, 0x78, v129
	v_lshlrev_b32_e32 v65, 2, v130
	v_add3_u32 v72, 0, v10, v65
	ds_write2_b32 v68, v77, v79 offset1:10
	ds_write_b32 v68, v78 offset:80
	ds_write2_b32 v70, v80, v81 offset1:10
	ds_write_b32 v70, v69 offset:80
	;; [unrolled: 2-line block ×4, first 2 shown]
	v_mul_lo_u16_e32 v67, 30, v131
	v_lshlrev_b32_e32 v69, 2, v132
	s_and_saveexec_b64 s[2:3], vcc
	s_cbranch_execz .LBB0_23
; %bb.22:
	v_add_f32_e32 v10, v64, v12
	v_lshlrev_b32_e32 v64, 2, v67
	v_add_f32_e32 v10, v10, v18
	v_add3_u32 v64, 0, v69, v64
	ds_write2_b32 v64, v10, v63 offset1:10
	ds_write_b32 v64, v62 offset:80
.LBB0_23:
	s_or_b64 exec, exec, s[2:3]
	v_add_f32_e32 v10, v4, v48
	v_add_f32_e32 v73, v10, v49
	v_add_f32_e32 v10, v48, v49
	v_fma_f32 v4, -0.5, v10, v4
	v_sub_f32_e32 v10, v37, v40
	v_mov_b32_e32 v48, v4
	v_fmac_f32_e32 v48, 0x3f5db3d7, v10
	v_fmac_f32_e32 v4, 0xbf5db3d7, v10
	v_add_f32_e32 v10, v5, v46
	v_add_f32_e32 v49, v10, v47
	v_add_f32_e32 v10, v46, v47
	v_fmac_f32_e32 v5, -0.5, v10
	v_sub_f32_e32 v10, v34, v35
	v_mov_b32_e32 v47, v5
	v_fmac_f32_e32 v47, 0x3f5db3d7, v10
	v_fmac_f32_e32 v5, 0xbf5db3d7, v10
	v_add_f32_e32 v10, v21, v43
	v_add_f32_e32 v74, v10, v45
	v_add_f32_e32 v10, v43, v45
	v_fma_f32 v75, -0.5, v10, v21
	v_sub_f32_e32 v9, v9, v33
	v_mov_b32_e32 v76, v75
	v_fmac_f32_e32 v76, 0x3f5db3d7, v9
	v_fmac_f32_e32 v75, 0xbf5db3d7, v9
	v_add_f32_e32 v9, v22, v39
	v_add_f32_e32 v77, v9, v44
	v_add_f32_e32 v9, v39, v44
	v_fmac_f32_e32 v22, -0.5, v9
	v_sub_f32_e32 v9, v27, v31
	v_mov_b32_e32 v78, v22
	v_fmac_f32_e32 v78, 0x3f5db3d7, v9
	v_fmac_f32_e32 v22, 0xbf5db3d7, v9
	;; [unrolled: 16-line block ×4, first 2 shown]
	v_add_f32_e32 v9, v6, v8
	v_fma_f32 v64, -0.5, v9, v7
	v_sub_f32_e32 v9, v12, v18
	v_mov_b32_e32 v65, v64
	v_fmac_f32_e32 v65, 0x3f5db3d7, v9
	v_fmac_f32_e32 v64, 0xbf5db3d7, v9
	v_add_u32_e32 v23, 0x400, v1
	v_add_u32_e32 v25, 0xc00, v1
	;; [unrolled: 1-line block ×11, first 2 shown]
	s_waitcnt lgkmcnt(0)
	s_barrier
	ds_read2_b32 v[12:13], v1 offset1:90
	ds_read2_b32 v[10:11], v23 offset0:104 offset1:194
	ds_read2_b32 v[37:38], v25 offset0:132 offset1:222
	;; [unrolled: 1-line block ×11, first 2 shown]
	ds_read_b32 v66, v1 offset:8640
	s_waitcnt lgkmcnt(0)
	s_barrier
	ds_write2_b32 v50, v73, v48 offset1:10
	ds_write_b32 v50, v4 offset:80
	ds_write2_b32 v51, v49, v47 offset1:10
	ds_write_b32 v51, v5 offset:80
	ds_write2_b32 v52, v74, v76 offset1:10
	ds_write_b32 v52, v75 offset:80
	ds_write2_b32 v53, v77, v78 offset1:10
	ds_write_b32 v53, v22 offset:80
	ds_write2_b32 v68, v79, v81 offset1:10
	ds_write_b32 v68, v80 offset:80
	ds_write2_b32 v70, v82, v83 offset1:10
	ds_write_b32 v70, v24 offset:80
	ds_write2_b32 v71, v84, v86 offset1:10
	ds_write_b32 v71, v85 offset:80
	ds_write2_b32 v72, v87, v88 offset1:10
	ds_write_b32 v72, v26 offset:80
	s_and_saveexec_b64 s[2:3], vcc
	s_cbranch_execz .LBB0_25
; %bb.24:
	v_add_f32_e32 v4, v7, v6
	v_lshlrev_b32_e32 v5, 2, v67
	v_add_f32_e32 v4, v4, v8
	v_add3_u32 v5, 0, v69, v5
	ds_write2_b32 v5, v4, v65 offset1:10
	ds_write_b32 v5, v64 offset:80
.LBB0_25:
	s_or_b64 exec, exec, s[2:3]
	s_movk_i32 s2, 0x89
	v_mul_lo_u16_sdwa v22, v0, s2 dst_sel:DWORD dst_unused:UNUSED_PAD src0_sel:BYTE_0 src1_sel:DWORD
	v_lshrrev_b16_e32 v24, 12, v22
	v_mul_lo_u16_e32 v22, 30, v24
	v_sub_u16_e32 v22, v0, v22
	v_mov_b32_e32 v73, 2
	v_mov_b32_e32 v74, 5
	v_lshlrev_b32_sdwa v26, v73, v22 dst_sel:DWORD dst_unused:UNUSED_PAD src0_sel:DWORD src1_sel:BYTE_0
	v_lshlrev_b32_sdwa v22, v74, v22 dst_sel:DWORD dst_unused:UNUSED_PAD src0_sel:DWORD src1_sel:BYTE_0
	s_waitcnt lgkmcnt(0)
	s_barrier
	ds_read2_b32 v[6:7], v1 offset1:90
	ds_read2_b32 v[4:5], v23 offset0:104 offset1:194
	ds_read2_b32 v[71:72], v25 offset0:132 offset1:222
	;; [unrolled: 1-line block ×11, first 2 shown]
	ds_read_b32 v102, v1 offset:8640
	global_load_dwordx4 v[67:70], v22, s[8:9] offset:176
	global_load_dwordx4 v[50:53], v22, s[8:9] offset:160
	v_mul_u32_u24_e32 v24, 0x258, v24
	s_waitcnt vmcnt(0) lgkmcnt(11)
	v_mul_f32_e32 v49, v5, v51
	v_fmac_f32_e32 v49, v11, v50
	v_mul_f32_e32 v11, v11, v51
	v_fma_f32 v5, v5, v50, -v11
	v_mul_f32_e32 v11, v37, v53
	s_waitcnt lgkmcnt(10)
	v_fma_f32 v22, v71, v52, -v11
	v_mul_f32_e32 v11, v17, v68
	s_waitcnt lgkmcnt(9)
	;; [unrolled: 3-line block ×3, first 2 shown]
	v_fma_f32 v48, v80, v69, -v11
	v_mul_lo_u16_sdwa v11, v57, s2 dst_sel:DWORD dst_unused:UNUSED_PAD src0_sel:BYTE_0 src1_sel:DWORD
	v_mul_f32_e32 v51, v95, v68
	v_lshrrev_b16_e32 v11, 12, v11
	v_mul_f32_e32 v50, v71, v53
	v_fmac_f32_e32 v51, v17, v67
	v_mul_f32_e32 v53, v80, v70
	v_mul_lo_u16_e32 v17, 30, v11
	v_fmac_f32_e32 v53, v35, v69
	v_sub_u16_e32 v35, v57, v17
	v_lshlrev_b32_sdwa v17, v73, v35 dst_sel:DWORD dst_unused:UNUSED_PAD src0_sel:DWORD src1_sel:BYTE_0
	v_lshlrev_b32_sdwa v35, v74, v35 dst_sel:DWORD dst_unused:UNUSED_PAD src0_sel:DWORD src1_sel:BYTE_0
	global_load_dwordx4 v[73:76], v35, s[8:9] offset:176
	global_load_dwordx4 v[77:80], v35, s[8:9] offset:160
	v_fmac_f32_e32 v50, v37, v52
	s_mov_b32 s2, 0x8889
	v_mul_u32_u24_e32 v11, 0x258, v11
	s_waitcnt vmcnt(0) lgkmcnt(7)
	v_mul_f32_e32 v70, v88, v78
	v_fmac_f32_e32 v70, v33, v77
	v_mul_f32_e32 v33, v33, v78
	v_fma_f32 v52, v88, v77, -v33
	v_mul_f32_e32 v71, v72, v80
	v_mul_f32_e32 v33, v38, v80
	v_fmac_f32_e32 v71, v38, v79
	v_fma_f32 v38, v72, v79, -v33
	s_waitcnt lgkmcnt(6)
	v_mul_f32_e32 v72, v90, v74
	v_fmac_f32_e32 v72, v31, v73
	v_mul_f32_e32 v31, v31, v74
	v_fma_f32 v68, v90, v73, -v31
	v_mul_f32_e32 v31, v36, v76
	v_fma_f32 v69, v81, v75, -v31
	v_mul_u32_u24_sdwa v31, v54, s2 dst_sel:DWORD dst_unused:UNUSED_PAD src0_sel:WORD_0 src1_sel:DWORD
	v_lshrrev_b32_e32 v31, 20, v31
	v_mul_lo_u16_e32 v33, 30, v31
	v_sub_u16_e32 v35, v54, v33
	v_lshlrev_b32_e32 v33, 2, v35
	v_lshlrev_b32_e32 v35, 5, v35
	v_mul_f32_e32 v74, v81, v76
	global_load_dwordx4 v[81:84], v35, s[8:9] offset:176
	global_load_dwordx4 v[85:88], v35, s[8:9] offset:160
	v_fmac_f32_e32 v74, v36, v75
	v_sub_f32_e32 v67, v74, v72
	s_waitcnt vmcnt(1)
	v_mul_f32_e32 v79, v91, v82
	v_fmac_f32_e32 v79, v32, v81
	v_mul_f32_e32 v32, v32, v82
	s_waitcnt lgkmcnt(3)
	v_mul_f32_e32 v82, v96, v84
	v_fmac_f32_e32 v82, v27, v83
	v_mul_f32_e32 v27, v27, v84
	v_fma_f32 v76, v96, v83, -v27
	v_mul_u32_u24_sdwa v27, v56, s2 dst_sel:DWORD dst_unused:UNUSED_PAD src0_sel:WORD_0 src1_sel:DWORD
	v_lshrrev_b32_e32 v27, 20, v27
	v_fma_f32 v75, v91, v81, -v32
	v_mul_lo_u16_e32 v32, 30, v27
	s_waitcnt vmcnt(0)
	v_mul_f32_e32 v77, v89, v86
	v_mul_f32_e32 v78, v92, v88
	v_sub_u16_e32 v32, v56, v32
	v_fmac_f32_e32 v77, v34, v85
	v_mul_f32_e32 v34, v34, v86
	v_fmac_f32_e32 v78, v29, v87
	v_mul_f32_e32 v29, v29, v88
	v_lshlrev_b32_e32 v103, 2, v32
	v_lshlrev_b32_e32 v32, 5, v32
	v_fma_f32 v73, v89, v85, -v34
	v_fma_f32 v29, v92, v87, -v29
	global_load_dwordx4 v[34:37], v32, s[8:9] offset:176
	global_load_dwordx4 v[85:88], v32, s[8:9] offset:160
	v_sub_f32_e32 v32, v22, v47
	v_sub_f32_e32 v96, v72, v74
	s_waitcnt vmcnt(0) lgkmcnt(2)
	v_mul_f32_e32 v84, v98, v86
	v_fmac_f32_e32 v84, v20, v85
	v_mul_f32_e32 v20, v20, v86
	s_waitcnt lgkmcnt(1)
	v_mul_f32_e32 v86, v100, v35
	v_fma_f32 v80, v98, v85, -v20
	v_mul_f32_e32 v85, v93, v88
	v_mul_f32_e32 v20, v30, v88
	v_fmac_f32_e32 v86, v18, v34
	v_mul_f32_e32 v18, v18, v35
	v_fmac_f32_e32 v85, v30, v87
	v_fma_f32 v81, v93, v87, -v20
	v_fma_f32 v83, v100, v34, -v18
	v_mul_f32_e32 v87, v97, v37
	v_mul_f32_e32 v18, v28, v37
	v_fmac_f32_e32 v87, v28, v36
	v_fma_f32 v28, v97, v36, -v18
	v_mul_u32_u24_sdwa v18, v55, s2 dst_sel:DWORD dst_unused:UNUSED_PAD src0_sel:WORD_0 src1_sel:DWORD
	v_lshrrev_b32_e32 v18, 20, v18
	v_mul_lo_u16_e32 v20, 30, v18
	v_sub_u16_e32 v20, v55, v20
	v_lshlrev_b32_e32 v30, 2, v20
	v_lshlrev_b32_e32 v20, 5, v20
	global_load_dwordx4 v[34:37], v20, s[8:9] offset:176
	global_load_dwordx4 v[88:91], v20, s[8:9] offset:160
	v_sub_f32_e32 v97, v77, v78
	v_sub_f32_e32 v98, v82, v79
	v_add_f32_e32 v97, v97, v98
	v_sub_f32_e32 v98, v79, v82
	s_waitcnt vmcnt(0) lgkmcnt(0)
	s_barrier
	v_mul_f32_e32 v95, v102, v37
	v_mul_f32_e32 v93, v94, v91
	v_fmac_f32_e32 v93, v16, v90
	v_mul_f32_e32 v16, v16, v91
	v_mul_f32_e32 v92, v99, v89
	;; [unrolled: 1-line block ×3, first 2 shown]
	v_fma_f32 v89, v94, v90, -v16
	v_mul_f32_e32 v94, v101, v35
	v_fmac_f32_e32 v94, v19, v34
	v_mul_f32_e32 v16, v19, v35
	v_add_f32_e32 v19, v50, v51
	v_fma_f32 v19, -0.5, v19, v12
	v_fmac_f32_e32 v92, v21, v88
	v_fma_f32 v88, v99, v88, -v20
	v_sub_f32_e32 v20, v5, v48
	v_mov_b32_e32 v21, v19
	v_fma_f32 v90, v101, v34, -v16
	v_fmac_f32_e32 v21, 0xbf737871, v20
	v_sub_f32_e32 v34, v49, v50
	v_sub_f32_e32 v35, v53, v51
	v_fmac_f32_e32 v19, 0x3f737871, v20
	v_fmac_f32_e32 v21, 0xbf167918, v32
	v_add_f32_e32 v34, v34, v35
	v_fmac_f32_e32 v19, 0x3f167918, v32
	v_mul_f32_e32 v16, v66, v37
	v_fmac_f32_e32 v21, 0x3e9e377a, v34
	v_fmac_f32_e32 v19, 0x3e9e377a, v34
	v_add_f32_e32 v34, v49, v53
	v_fma_f32 v91, v102, v36, -v16
	v_add_f32_e32 v16, v12, v49
	v_fma_f32 v12, -0.5, v34, v12
	v_mov_b32_e32 v34, v12
	v_fmac_f32_e32 v95, v66, v36
	v_fmac_f32_e32 v34, 0x3f737871, v32
	v_sub_f32_e32 v35, v50, v49
	v_sub_f32_e32 v36, v51, v53
	v_fmac_f32_e32 v12, 0xbf737871, v32
	v_add_f32_e32 v32, v71, v72
	v_fmac_f32_e32 v34, 0xbf167918, v20
	v_add_f32_e32 v35, v35, v36
	v_fmac_f32_e32 v12, 0x3f167918, v20
	v_fma_f32 v32, -0.5, v32, v13
	v_fmac_f32_e32 v34, 0x3e9e377a, v35
	v_fmac_f32_e32 v12, 0x3e9e377a, v35
	v_sub_f32_e32 v35, v52, v69
	v_mov_b32_e32 v36, v32
	v_fmac_f32_e32 v36, 0xbf737871, v35
	v_sub_f32_e32 v37, v38, v68
	v_sub_f32_e32 v66, v70, v71
	v_fmac_f32_e32 v32, 0x3f737871, v35
	v_fmac_f32_e32 v36, 0xbf167918, v37
	v_add_f32_e32 v66, v66, v67
	v_fmac_f32_e32 v32, 0x3f167918, v37
	v_fmac_f32_e32 v36, 0x3e9e377a, v66
	;; [unrolled: 1-line block ×3, first 2 shown]
	v_add_f32_e32 v66, v70, v74
	v_add_f32_e32 v20, v13, v70
	v_fmac_f32_e32 v13, -0.5, v66
	v_mov_b32_e32 v66, v13
	v_fmac_f32_e32 v66, 0x3f737871, v37
	v_sub_f32_e32 v67, v71, v70
	v_fmac_f32_e32 v13, 0xbf737871, v37
	v_add_f32_e32 v37, v78, v79
	v_fmac_f32_e32 v66, 0xbf167918, v35
	v_add_f32_e32 v67, v67, v96
	v_fmac_f32_e32 v13, 0x3f167918, v35
	v_fma_f32 v37, -0.5, v37, v14
	v_fmac_f32_e32 v66, 0x3e9e377a, v67
	v_fmac_f32_e32 v13, 0x3e9e377a, v67
	v_sub_f32_e32 v67, v73, v76
	v_mov_b32_e32 v99, v37
	v_fmac_f32_e32 v99, 0xbf737871, v67
	v_sub_f32_e32 v96, v29, v75
	v_fmac_f32_e32 v37, 0x3f737871, v67
	v_fmac_f32_e32 v99, 0xbf167918, v96
	v_fmac_f32_e32 v37, 0x3f167918, v96
	v_fmac_f32_e32 v99, 0x3e9e377a, v97
	v_fmac_f32_e32 v37, 0x3e9e377a, v97
	v_add_f32_e32 v97, v77, v82
	v_add_f32_e32 v35, v14, v77
	v_fma_f32 v14, -0.5, v97, v14
	v_mov_b32_e32 v100, v14
	v_fmac_f32_e32 v100, 0x3f737871, v96
	v_fmac_f32_e32 v14, 0xbf737871, v96
	;; [unrolled: 1-line block ×4, first 2 shown]
	v_add_f32_e32 v67, v15, v84
	v_add_f32_e32 v67, v67, v85
	;; [unrolled: 1-line block ×5, first 2 shown]
	v_sub_f32_e32 v97, v78, v77
	v_fma_f32 v102, -0.5, v67, v15
	v_add_f32_e32 v97, v97, v98
	v_sub_f32_e32 v67, v80, v28
	v_mov_b32_e32 v104, v102
	v_fmac_f32_e32 v100, 0x3e9e377a, v97
	v_fmac_f32_e32 v14, 0x3e9e377a, v97
	;; [unrolled: 1-line block ×3, first 2 shown]
	v_sub_f32_e32 v96, v81, v83
	v_sub_f32_e32 v97, v84, v85
	;; [unrolled: 1-line block ×3, first 2 shown]
	v_fmac_f32_e32 v102, 0x3f737871, v67
	v_fmac_f32_e32 v104, 0xbf167918, v96
	v_add_f32_e32 v97, v97, v98
	v_fmac_f32_e32 v102, 0x3f167918, v96
	v_fmac_f32_e32 v104, 0x3e9e377a, v97
	;; [unrolled: 1-line block ×3, first 2 shown]
	v_add_f32_e32 v97, v84, v87
	v_fmac_f32_e32 v15, -0.5, v97
	v_mov_b32_e32 v105, v15
	v_fmac_f32_e32 v105, 0x3f737871, v96
	v_fmac_f32_e32 v15, 0xbf737871, v96
	;; [unrolled: 1-line block ×4, first 2 shown]
	v_add_f32_e32 v67, v10, v92
	v_add_f32_e32 v67, v67, v93
	;; [unrolled: 1-line block ×5, first 2 shown]
	v_sub_f32_e32 v97, v85, v84
	v_sub_f32_e32 v98, v86, v87
	v_fma_f32 v67, -0.5, v67, v10
	v_add_f32_e32 v97, v97, v98
	v_sub_f32_e32 v96, v88, v91
	v_mov_b32_e32 v107, v67
	v_fmac_f32_e32 v105, 0x3e9e377a, v97
	v_fmac_f32_e32 v15, 0x3e9e377a, v97
	;; [unrolled: 1-line block ×3, first 2 shown]
	v_sub_f32_e32 v97, v89, v90
	v_sub_f32_e32 v98, v92, v93
	;; [unrolled: 1-line block ×3, first 2 shown]
	v_fmac_f32_e32 v67, 0x3f737871, v96
	v_fmac_f32_e32 v107, 0xbf167918, v97
	v_add_f32_e32 v98, v98, v108
	v_fmac_f32_e32 v67, 0x3f167918, v97
	v_fmac_f32_e32 v107, 0x3e9e377a, v98
	;; [unrolled: 1-line block ×3, first 2 shown]
	v_add_f32_e32 v98, v92, v95
	v_fmac_f32_e32 v10, -0.5, v98
	v_mov_b32_e32 v108, v10
	v_add_f32_e32 v16, v16, v50
	v_add_f32_e32 v20, v20, v71
	v_add_f32_e32 v35, v35, v78
	v_fmac_f32_e32 v108, 0x3f737871, v97
	v_sub_f32_e32 v98, v93, v92
	v_sub_f32_e32 v109, v94, v95
	v_fmac_f32_e32 v10, 0xbf737871, v97
	v_add_f32_e32 v16, v16, v51
	v_add_f32_e32 v20, v20, v72
	;; [unrolled: 1-line block ×3, first 2 shown]
	v_fmac_f32_e32 v108, 0xbf167918, v96
	v_add_f32_e32 v98, v98, v109
	v_fmac_f32_e32 v10, 0x3f167918, v96
	v_add3_u32 v97, 0, v11, v17
	v_mul_u32_u24_e32 v11, 0x258, v31
	v_add_f32_e32 v16, v16, v53
	v_add_f32_e32 v20, v20, v74
	;; [unrolled: 1-line block ×3, first 2 shown]
	v_fmac_f32_e32 v108, 0x3e9e377a, v98
	v_fmac_f32_e32 v10, 0x3e9e377a, v98
	v_add3_u32 v96, 0, v24, v26
	v_add3_u32 v98, 0, v11, v33
	v_mul_u32_u24_e32 v11, 0x258, v27
	ds_write2_b32 v96, v16, v21 offset1:30
	ds_write2_b32 v96, v34, v12 offset0:60 offset1:90
	ds_write_b32 v96, v19 offset:480
	ds_write2_b32 v97, v20, v36 offset1:30
	ds_write2_b32 v97, v66, v13 offset0:60 offset1:90
	ds_write_b32 v97, v32 offset:480
	;; [unrolled: 3-line block ×3, first 2 shown]
	v_add3_u32 v99, 0, v11, v103
	v_mul_u32_u24_e32 v11, 0x258, v18
	v_add3_u32 v100, 0, v11, v30
	ds_write2_b32 v99, v101, v104 offset1:30
	ds_write2_b32 v99, v105, v15 offset0:60 offset1:90
	ds_write_b32 v99, v102 offset:480
	ds_write2_b32 v100, v106, v107 offset1:30
	ds_write2_b32 v100, v108, v10 offset0:60 offset1:90
	ds_write_b32 v100, v67 offset:480
	s_waitcnt lgkmcnt(0)
	s_barrier
	ds_read2_b32 v[16:17], v1 offset1:90
	ds_read2_b32 v[34:35], v46 offset0:110 offset1:200
	v_add_u32_e32 v46, 0x1600, v1
	ds_read2_b32 v[36:37], v46 offset0:92 offset1:182
	ds_read2_b32 v[14:15], v44 offset0:52 offset1:142
	;; [unrolled: 1-line block ×10, first 2 shown]
	v_lshl_add_u32 v66, v0, 2, 0
	s_and_saveexec_b64 s[2:3], vcc
	s_cbranch_execz .LBB0_27
; %bb.26:
	ds_read_b32 v63, v1 offset:5880
	ds_read_b32 v67, v66 offset:2880
	;; [unrolled: 1-line block ×3, first 2 shown]
.LBB0_27:
	s_or_b64 exec, exec, s[2:3]
	v_add_f32_e32 v39, v22, v47
	v_fma_f32 v39, -0.5, v39, v6
	v_sub_f32_e32 v40, v49, v53
	v_mov_b32_e32 v41, v39
	v_fmac_f32_e32 v41, 0x3f737871, v40
	v_sub_f32_e32 v42, v50, v51
	v_sub_f32_e32 v43, v5, v22
	;; [unrolled: 1-line block ×3, first 2 shown]
	v_fmac_f32_e32 v39, 0xbf737871, v40
	v_fmac_f32_e32 v41, 0x3f167918, v42
	v_add_f32_e32 v43, v43, v44
	v_fmac_f32_e32 v39, 0xbf167918, v42
	v_add_f32_e32 v23, v6, v5
	v_fmac_f32_e32 v41, 0x3e9e377a, v43
	v_fmac_f32_e32 v39, 0x3e9e377a, v43
	v_add_f32_e32 v43, v5, v48
	v_add_f32_e32 v23, v23, v22
	v_fma_f32 v6, -0.5, v43, v6
	v_sub_f32_e32 v5, v22, v5
	v_sub_f32_e32 v22, v47, v48
	v_mov_b32_e32 v43, v6
	v_add_f32_e32 v5, v5, v22
	v_add_f32_e32 v22, v38, v68
	v_fmac_f32_e32 v43, 0xbf737871, v42
	v_fmac_f32_e32 v6, 0x3f737871, v42
	v_fma_f32 v22, -0.5, v22, v7
	v_fmac_f32_e32 v43, 0x3f167918, v40
	v_fmac_f32_e32 v6, 0xbf167918, v40
	v_sub_f32_e32 v40, v70, v74
	v_mov_b32_e32 v42, v22
	v_add_f32_e32 v23, v23, v47
	v_fmac_f32_e32 v42, 0x3f737871, v40
	v_sub_f32_e32 v44, v71, v72
	v_sub_f32_e32 v45, v52, v38
	;; [unrolled: 1-line block ×3, first 2 shown]
	v_fmac_f32_e32 v22, 0xbf737871, v40
	v_fmac_f32_e32 v42, 0x3f167918, v44
	v_add_f32_e32 v45, v45, v47
	v_fmac_f32_e32 v22, 0xbf167918, v44
	v_fmac_f32_e32 v42, 0x3e9e377a, v45
	;; [unrolled: 1-line block ×3, first 2 shown]
	v_add_f32_e32 v45, v52, v69
	v_fmac_f32_e32 v43, 0x3e9e377a, v5
	v_fmac_f32_e32 v6, 0x3e9e377a, v5
	v_add_f32_e32 v5, v7, v52
	v_fmac_f32_e32 v7, -0.5, v45
	v_mov_b32_e32 v45, v7
	v_fmac_f32_e32 v45, 0xbf737871, v44
	v_fmac_f32_e32 v7, 0x3f737871, v44
	;; [unrolled: 1-line block ×4, first 2 shown]
	v_add_f32_e32 v40, v29, v75
	v_add_f32_e32 v5, v5, v38
	v_sub_f32_e32 v38, v38, v52
	v_sub_f32_e32 v47, v68, v69
	v_fma_f32 v40, -0.5, v40, v8
	v_add_f32_e32 v38, v38, v47
	v_sub_f32_e32 v44, v77, v82
	v_mov_b32_e32 v47, v40
	v_add_f32_e32 v23, v23, v48
	v_fmac_f32_e32 v47, 0x3f737871, v44
	v_sub_f32_e32 v48, v78, v79
	v_sub_f32_e32 v49, v73, v29
	;; [unrolled: 1-line block ×3, first 2 shown]
	v_fmac_f32_e32 v40, 0xbf737871, v44
	v_fmac_f32_e32 v47, 0x3f167918, v48
	v_add_f32_e32 v49, v49, v50
	v_fmac_f32_e32 v40, 0xbf167918, v48
	v_fmac_f32_e32 v47, 0x3e9e377a, v49
	;; [unrolled: 1-line block ×3, first 2 shown]
	v_add_f32_e32 v49, v73, v76
	v_fmac_f32_e32 v45, 0x3e9e377a, v38
	v_fmac_f32_e32 v7, 0x3e9e377a, v38
	v_add_f32_e32 v38, v8, v73
	v_fma_f32 v8, -0.5, v49, v8
	v_mov_b32_e32 v49, v8
	v_fmac_f32_e32 v49, 0xbf737871, v48
	v_fmac_f32_e32 v8, 0x3f737871, v48
	;; [unrolled: 1-line block ×4, first 2 shown]
	v_add_f32_e32 v44, v81, v83
	v_add_f32_e32 v38, v38, v29
	v_sub_f32_e32 v29, v29, v73
	v_sub_f32_e32 v50, v75, v76
	v_fma_f32 v44, -0.5, v44, v9
	v_add_f32_e32 v29, v29, v50
	v_sub_f32_e32 v48, v84, v87
	v_mov_b32_e32 v50, v44
	v_fmac_f32_e32 v50, 0x3f737871, v48
	v_sub_f32_e32 v51, v85, v86
	v_sub_f32_e32 v52, v80, v81
	;; [unrolled: 1-line block ×3, first 2 shown]
	v_fmac_f32_e32 v44, 0xbf737871, v48
	v_fmac_f32_e32 v50, 0x3f167918, v51
	v_add_f32_e32 v52, v52, v53
	v_fmac_f32_e32 v44, 0xbf167918, v51
	v_fmac_f32_e32 v50, 0x3e9e377a, v52
	;; [unrolled: 1-line block ×3, first 2 shown]
	v_add_f32_e32 v52, v80, v28
	v_fmac_f32_e32 v49, 0x3e9e377a, v29
	v_fmac_f32_e32 v8, 0x3e9e377a, v29
	v_add_f32_e32 v29, v9, v80
	v_fmac_f32_e32 v9, -0.5, v52
	v_mov_b32_e32 v52, v9
	v_fmac_f32_e32 v52, 0xbf737871, v51
	v_fmac_f32_e32 v9, 0x3f737871, v51
	v_add_f32_e32 v29, v29, v81
	v_fmac_f32_e32 v52, 0x3f167918, v48
	v_fmac_f32_e32 v9, 0xbf167918, v48
	v_add_f32_e32 v48, v89, v90
	v_add_f32_e32 v5, v5, v68
	;; [unrolled: 1-line block ×3, first 2 shown]
	v_fma_f32 v68, -0.5, v48, v4
	v_add_f32_e32 v29, v29, v28
	v_sub_f32_e32 v53, v81, v80
	v_sub_f32_e32 v28, v83, v28
	;; [unrolled: 1-line block ×3, first 2 shown]
	v_mov_b32_e32 v51, v68
	v_add_f32_e32 v5, v5, v69
	v_add_f32_e32 v28, v53, v28
	v_fmac_f32_e32 v51, 0x3f737871, v48
	v_sub_f32_e32 v53, v93, v94
	v_sub_f32_e32 v69, v88, v89
	;; [unrolled: 1-line block ×3, first 2 shown]
	v_fmac_f32_e32 v68, 0xbf737871, v48
	v_fmac_f32_e32 v51, 0x3f167918, v53
	v_add_f32_e32 v69, v69, v70
	v_fmac_f32_e32 v68, 0xbf167918, v53
	v_fmac_f32_e32 v51, 0x3e9e377a, v69
	;; [unrolled: 1-line block ×3, first 2 shown]
	v_add_f32_e32 v69, v88, v91
	v_fmac_f32_e32 v52, 0x3e9e377a, v28
	v_fmac_f32_e32 v9, 0x3e9e377a, v28
	v_add_f32_e32 v28, v4, v88
	v_fmac_f32_e32 v4, -0.5, v69
	v_mov_b32_e32 v69, v4
	v_add_f32_e32 v28, v28, v89
	v_fmac_f32_e32 v69, 0xbf737871, v53
	v_sub_f32_e32 v70, v89, v88
	v_sub_f32_e32 v71, v90, v91
	v_fmac_f32_e32 v4, 0x3f737871, v53
	v_add_f32_e32 v38, v38, v75
	v_add_f32_e32 v28, v28, v90
	v_fmac_f32_e32 v69, 0x3f167918, v48
	v_add_f32_e32 v70, v70, v71
	v_fmac_f32_e32 v4, 0xbf167918, v48
	v_add_f32_e32 v38, v38, v76
	v_add_f32_e32 v28, v28, v91
	v_fmac_f32_e32 v69, 0x3e9e377a, v70
	v_fmac_f32_e32 v4, 0x3e9e377a, v70
	s_waitcnt lgkmcnt(0)
	s_barrier
	ds_write2_b32 v96, v23, v41 offset1:30
	ds_write2_b32 v96, v43, v6 offset0:60 offset1:90
	ds_write_b32 v96, v39 offset:480
	ds_write2_b32 v97, v5, v42 offset1:30
	ds_write2_b32 v97, v45, v7 offset0:60 offset1:90
	ds_write_b32 v97, v22 offset:480
	ds_write2_b32 v98, v38, v47 offset1:30
	ds_write2_b32 v98, v49, v8 offset0:60 offset1:90
	ds_write_b32 v98, v40 offset:480
	ds_write2_b32 v99, v29, v50 offset1:30
	ds_write2_b32 v99, v52, v9 offset0:60 offset1:90
	ds_write_b32 v99, v44 offset:480
	ds_write2_b32 v100, v28, v51 offset1:30
	ds_write2_b32 v100, v69, v4 offset0:60 offset1:90
	ds_write_b32 v100, v68 offset:480
	v_add_u32_e32 v6, 0xa00, v1
	s_waitcnt lgkmcnt(0)
	s_barrier
	ds_read2_b32 v[4:5], v1 offset1:90
	ds_read2_b32 v[52:53], v6 offset0:110 offset1:200
	ds_read2_b32 v[50:51], v46 offset0:92 offset1:182
	v_add_u32_e32 v6, 0x200, v1
	ds_read2_b32 v[7:8], v6 offset0:52 offset1:142
	v_add_u32_e32 v6, 0xc00, v1
	;; [unrolled: 2-line block ×9, first 2 shown]
	ds_read2_b32 v[38:39], v6 offset0:120 offset1:210
	s_and_saveexec_b64 s[2:3], vcc
	s_cbranch_execz .LBB0_29
; %bb.28:
	ds_read_b32 v65, v1 offset:5880
	ds_read_b32 v68, v66 offset:2880
	;; [unrolled: 1-line block ×3, first 2 shown]
.LBB0_29:
	s_or_b64 exec, exec, s[2:3]
	v_lshlrev_b32_e32 v73, 1, v0
	v_mov_b32_e32 v74, 0
	v_lshlrev_b64 v[69:70], 3, v[73:74]
	v_mov_b32_e32 v6, s9
	v_add_co_u32_e64 v69, s[2:3], s8, v69
	v_addc_co_u32_e64 v70, s[2:3], v6, v70, s[2:3]
	v_subrev_u32_e32 v9, 60, v0
	v_cmp_gt_u32_e64 s[2:3], 60, v0
	v_add_u32_e32 v73, 60, v73
	v_cndmask_b32_e64 v105, v9, v57, s[2:3]
	v_mov_b32_e32 v76, v74
	v_lshlrev_b64 v[73:74], 3, v[73:74]
	v_lshlrev_b32_e32 v75, 1, v105
	v_lshlrev_b64 v[77:78], 3, v[75:76]
	v_add_co_u32_e64 v73, s[2:3], s8, v73
	v_addc_co_u32_e64 v74, s[2:3], v6, v74, s[2:3]
	v_add_co_u32_e64 v77, s[2:3], s8, v77
	v_addc_co_u32_e64 v78, s[2:3], v6, v78, s[2:3]
	v_lshrrev_b16_e32 v6, 1, v56
	v_mul_u32_u24_e32 v6, 0xda75, v6
	v_lshrrev_b32_e32 v106, 22, v6
	v_mul_lo_u16_e32 v6, 0x96, v106
	v_sub_u16_e32 v107, v56, v6
	v_lshlrev_b32_e32 v6, 4, v107
	global_load_dwordx4 v[69:72], v[69:70], off offset:1120
	v_cmp_lt_u32_e64 s[2:3], 59, v0
	global_load_dwordx4 v[81:84], v6, s[8:9] offset:1120
	v_lshrrev_b16_e32 v6, 1, v55
	v_mul_u32_u24_e32 v6, 0xda75, v6
	v_lshrrev_b32_e32 v6, 22, v6
	v_mul_lo_u16_e32 v6, 0x96, v6
	v_sub_u16_e32 v108, v55, v6
	v_lshlrev_b32_e32 v6, 4, v108
	global_load_dwordx4 v[73:76], v[73:74], off offset:1120
	s_waitcnt vmcnt(2)
	v_mul_f32_e32 v9, v36, v72
	global_load_dwordx4 v[85:88], v6, s[8:9] offset:1120
	v_lshrrev_b16_e32 v6, 1, v58
	v_mul_u32_u24_e32 v6, 0xda75, v6
	v_lshrrev_b32_e32 v6, 22, v6
	v_mul_lo_u16_e32 v6, 0x96, v6
	v_sub_u16_e32 v109, v58, v6
	v_lshlrev_b32_e32 v6, 4, v109
	global_load_dwordx4 v[77:80], v[77:78], off offset:1120
	s_waitcnt lgkmcnt(10)
	v_mul_f32_e32 v58, v52, v70
	global_load_dwordx4 v[89:92], v6, s[8:9] offset:1120
	v_lshrrev_b16_e32 v6, 1, v59
	v_mul_u32_u24_e32 v6, 0xda75, v6
	v_lshrrev_b32_e32 v110, 22, v6
	v_mul_lo_u16_e32 v6, 0x96, v110
	v_sub_u16_e32 v111, v59, v6
	v_lshlrev_b32_e32 v6, 4, v111
	global_load_dwordx4 v[93:96], v6, s[8:9] offset:1120
	v_lshrrev_b16_e32 v6, 1, v60
	v_mul_u32_u24_e32 v6, 0xda75, v6
	v_lshrrev_b32_e32 v6, 22, v6
	v_mul_lo_u16_e32 v6, 0x96, v6
	v_sub_u16_e32 v112, v60, v6
	v_lshlrev_b32_e32 v6, 4, v112
	;; [unrolled: 7-line block ×3, first 2 shown]
	global_load_dwordx4 v[101:104], v6, s[8:9] offset:1120
	v_mul_f32_e32 v6, v34, v70
	s_waitcnt lgkmcnt(9)
	v_mul_f32_e32 v59, v50, v72
	v_fmac_f32_e32 v58, v34, v69
	v_fma_f32 v61, v52, v69, -v6
	v_fmac_f32_e32 v59, v36, v71
	v_fma_f32 v69, v50, v71, -v9
	s_waitcnt vmcnt(6)
	v_mul_f32_e32 v9, v32, v74
	s_waitcnt lgkmcnt(7)
	v_mul_f32_e32 v6, v48, v74
	v_fmac_f32_e32 v6, v32, v73
	v_mul_f32_e32 v32, v49, v82
	v_fmac_f32_e32 v32, v33, v81
	s_waitcnt vmcnt(0) lgkmcnt(0)
	s_barrier
	v_mul_f32_e32 v36, v37, v80
	v_mul_f32_e32 v52, v51, v80
	v_fma_f32 v71, v51, v79, -v36
	v_fma_f32 v51, v48, v73, -v9
	v_mul_f32_e32 v9, v30, v76
	v_fma_f32 v60, v46, v75, -v9
	v_mul_f32_e32 v9, v33, v82
	v_mul_f32_e32 v34, v35, v78
	v_fma_f32 v49, v49, v81, -v9
	v_mul_f32_e32 v9, v31, v84
	;; [unrolled: 3-line block ×4, first 2 shown]
	v_fmac_f32_e32 v46, v31, v83
	v_mul_f32_e32 v31, v44, v86
	v_fma_f32 v44, v44, v85, -v9
	v_mul_f32_e32 v9, v24, v88
	v_fma_f32 v47, v42, v87, -v9
	v_mul_f32_e32 v9, v27, v90
	v_fmac_f32_e32 v52, v37, v79
	v_fma_f32 v37, v45, v89, -v9
	v_mul_f32_e32 v9, v25, v92
	v_mul_f32_e32 v36, v42, v88
	;; [unrolled: 1-line block ×3, first 2 shown]
	v_fma_f32 v42, v43, v91, -v9
	v_mul_f32_e32 v9, v20, v94
	v_fmac_f32_e32 v50, v35, v77
	v_fmac_f32_e32 v31, v26, v85
	v_mul_f32_e32 v26, v45, v90
	v_fmac_f32_e32 v34, v25, v91
	v_mul_f32_e32 v25, v40, v94
	v_fma_f32 v35, v40, v93, -v9
	v_mul_f32_e32 v9, v18, v96
	v_fmac_f32_e32 v26, v27, v89
	v_fmac_f32_e32 v25, v20, v93
	v_mul_f32_e32 v27, v38, v96
	v_fma_f32 v38, v38, v95, -v9
	v_mul_f32_e32 v20, v41, v98
	v_mul_f32_e32 v9, v21, v98
	v_fmac_f32_e32 v20, v21, v97
	v_fma_f32 v33, v41, v97, -v9
	v_mul_f32_e32 v21, v39, v100
	v_mul_f32_e32 v9, v19, v100
	v_add_f32_e32 v40, v58, v59
	v_fmac_f32_e32 v21, v19, v99
	v_fma_f32 v19, v39, v99, -v9
	v_add_f32_e32 v39, v16, v58
	v_fma_f32 v16, -0.5, v40, v16
	v_fmac_f32_e32 v27, v18, v95
	v_mul_f32_e32 v18, v63, v102
	v_sub_f32_e32 v40, v61, v69
	v_mov_b32_e32 v41, v16
	v_add_f32_e32 v43, v50, v52
	v_fmac_f32_e32 v48, v30, v75
	v_fmac_f32_e32 v36, v24, v87
	v_fma_f32 v24, v65, v101, -v18
	v_mul_f32_e32 v18, v64, v104
	v_fmac_f32_e32 v41, 0xbf5db3d7, v40
	v_fmac_f32_e32 v16, 0x3f5db3d7, v40
	v_add_f32_e32 v40, v17, v50
	v_fmac_f32_e32 v17, -0.5, v43
	v_fmac_f32_e32 v18, v62, v103
	v_mul_f32_e32 v30, v62, v104
	v_sub_f32_e32 v43, v70, v71
	v_mov_b32_e32 v45, v17
	v_add_f32_e32 v62, v6, v48
	v_mul_f32_e32 v9, v65, v102
	v_fmac_f32_e32 v45, 0xbf5db3d7, v43
	v_fmac_f32_e32 v17, 0x3f5db3d7, v43
	v_add_f32_e32 v43, v14, v6
	v_fma_f32 v14, -0.5, v62, v14
	v_fmac_f32_e32 v9, v63, v101
	v_fma_f32 v30, v64, v103, -v30
	v_sub_f32_e32 v62, v51, v60
	v_mov_b32_e32 v63, v14
	v_add_f32_e32 v64, v32, v46
	v_fmac_f32_e32 v63, 0xbf5db3d7, v62
	v_fmac_f32_e32 v14, 0x3f5db3d7, v62
	v_add_f32_e32 v62, v15, v32
	v_fmac_f32_e32 v15, -0.5, v64
	v_sub_f32_e32 v64, v49, v53
	v_mov_b32_e32 v65, v15
	v_fmac_f32_e32 v65, 0xbf5db3d7, v64
	v_fmac_f32_e32 v15, 0x3f5db3d7, v64
	v_add_f32_e32 v64, v12, v31
	v_add_f32_e32 v72, v64, v36
	;; [unrolled: 1-line block ×3, first 2 shown]
	v_fma_f32 v73, -0.5, v64, v12
	v_sub_f32_e32 v12, v44, v47
	v_mov_b32_e32 v74, v73
	v_fmac_f32_e32 v74, 0xbf5db3d7, v12
	v_fmac_f32_e32 v73, 0x3f5db3d7, v12
	v_add_f32_e32 v12, v13, v26
	v_add_f32_e32 v75, v12, v34
	;; [unrolled: 1-line block ×3, first 2 shown]
	v_fmac_f32_e32 v13, -0.5, v12
	v_sub_f32_e32 v12, v37, v42
	v_mov_b32_e32 v76, v13
	v_fmac_f32_e32 v76, 0xbf5db3d7, v12
	v_fmac_f32_e32 v13, 0x3f5db3d7, v12
	v_add_f32_e32 v12, v10, v25
	v_add_f32_e32 v77, v12, v27
	v_add_f32_e32 v12, v25, v27
	v_fma_f32 v10, -0.5, v12, v10
	v_sub_f32_e32 v12, v35, v38
	v_mov_b32_e32 v78, v10
	v_fmac_f32_e32 v78, 0xbf5db3d7, v12
	v_fmac_f32_e32 v10, 0x3f5db3d7, v12
	v_add_f32_e32 v12, v11, v20
	v_add_f32_e32 v79, v12, v21
	;; [unrolled: 1-line block ×3, first 2 shown]
	v_fmac_f32_e32 v11, -0.5, v12
	v_sub_f32_e32 v12, v33, v19
	v_mov_b32_e32 v80, v11
	v_add_f32_e32 v39, v39, v59
	v_fmac_f32_e32 v80, 0xbf5db3d7, v12
	v_fmac_f32_e32 v11, 0x3f5db3d7, v12
	v_mov_b32_e32 v12, 0x708
	ds_write2_b32 v1, v39, v41 offset1:150
	ds_write_b32 v1, v16 offset:1200
	v_cndmask_b32_e64 v12, 0, v12, s[2:3]
	v_lshlrev_b32_e32 v16, 2, v105
	v_add_f32_e32 v40, v40, v52
	v_add_f32_e32 v43, v43, v48
	v_add3_u32 v12, 0, v12, v16
	v_add_u32_e32 v41, 0x600, v66
	ds_write2_b32 v12, v40, v45 offset1:150
	ds_write_b32 v12, v17 offset:1200
	ds_write2_b32 v41, v43, v63 offset0:96 offset1:246
	ds_write_b32 v66, v14 offset:3120
	v_mul_u32_u24_e32 v14, 0x708, v106
	v_lshlrev_b32_e32 v16, 2, v107
	v_add_f32_e32 v62, v62, v46
	v_add3_u32 v43, 0, v14, v16
	ds_write2_b32 v43, v62, v65 offset1:150
	ds_write_b32 v43, v15 offset:1200
	v_lshl_add_u32 v62, v108, 2, 0
	v_lshl_add_u32 v63, v109, 2, 0
	v_add_u32_e32 v64, 0xe00, v62
	v_add_u32_e32 v14, 0x1400, v63
	ds_write2_b32 v64, v72, v74 offset0:4 offset1:154
	ds_write_b32 v62, v73 offset:4800
	ds_write2_b32 v14, v75, v76 offset0:70 offset1:220
	ds_write_b32 v63, v13 offset:6600
	v_mul_u32_u24_e32 v13, 0x708, v110
	v_lshlrev_b32_e32 v14, 2, v111
	v_add3_u32 v13, 0, v13, v14
	v_lshl_add_u32 v65, v112, 2, 0
	ds_write2_b32 v13, v77, v78 offset1:150
	ds_write_b32 v13, v10 offset:1200
	v_add_u32_e32 v10, 0x1c00, v65
	ds_write2_b32 v10, v79, v80 offset0:8 offset1:158
	ds_write_b32 v65, v11 offset:8400
	v_lshl_add_u32 v11, v113, 2, 0
	s_and_saveexec_b64 s[2:3], vcc
	s_cbranch_execz .LBB0_31
; %bb.30:
	v_add_f32_e32 v10, v9, v18
	v_fma_f32 v10, -0.5, v10, v67
	v_sub_f32_e32 v14, v24, v30
	v_mov_b32_e32 v15, v10
	v_fmac_f32_e32 v15, 0x3f5db3d7, v14
	v_fmac_f32_e32 v10, 0xbf5db3d7, v14
	v_add_f32_e32 v14, v67, v9
	v_add_f32_e32 v14, v14, v18
	v_add_u32_e32 v16, 0x1c00, v11
	ds_write2_b32 v16, v14, v10 offset0:8 offset1:158
	ds_write_b32 v11, v15 offset:8400
.LBB0_31:
	s_or_b64 exec, exec, s[2:3]
	v_add_f32_e32 v10, v4, v61
	v_add_f32_e32 v67, v10, v69
	v_add_f32_e32 v10, v61, v69
	v_fma_f32 v4, -0.5, v10, v4
	v_sub_f32_e32 v10, v58, v59
	v_mov_b32_e32 v58, v4
	v_fmac_f32_e32 v58, 0x3f5db3d7, v10
	v_fmac_f32_e32 v4, 0xbf5db3d7, v10
	v_add_f32_e32 v10, v5, v70
	v_add_f32_e32 v59, v10, v71
	v_add_f32_e32 v10, v70, v71
	v_fmac_f32_e32 v5, -0.5, v10
	v_sub_f32_e32 v10, v50, v52
	v_mov_b32_e32 v50, v5
	v_fmac_f32_e32 v50, 0x3f5db3d7, v10
	v_fmac_f32_e32 v5, 0xbf5db3d7, v10
	v_add_f32_e32 v10, v7, v51
	v_add_f32_e32 v52, v10, v60
	v_add_f32_e32 v10, v51, v60
	v_fma_f32 v51, -0.5, v10, v7
	v_sub_f32_e32 v6, v6, v48
	v_mov_b32_e32 v60, v51
	v_fmac_f32_e32 v60, 0x3f5db3d7, v6
	v_fmac_f32_e32 v51, 0xbf5db3d7, v6
	v_add_f32_e32 v6, v8, v49
	v_add_f32_e32 v61, v6, v53
	v_add_f32_e32 v6, v49, v53
	v_fmac_f32_e32 v8, -0.5, v6
	v_sub_f32_e32 v6, v32, v46
	v_mov_b32_e32 v32, v8
	v_fmac_f32_e32 v32, 0x3f5db3d7, v6
	v_fmac_f32_e32 v8, 0xbf5db3d7, v6
	;; [unrolled: 16-line block ×3, first 2 shown]
	v_add_f32_e32 v6, v28, v35
	v_add_f32_e32 v42, v6, v38
	;; [unrolled: 1-line block ×3, first 2 shown]
	v_fma_f32 v38, -0.5, v6, v28
	v_sub_f32_e32 v6, v25, v27
	v_mov_b32_e32 v69, v38
	v_fmac_f32_e32 v69, 0x3f5db3d7, v6
	v_fmac_f32_e32 v38, 0xbf5db3d7, v6
	v_add_f32_e32 v6, v29, v33
	v_add_u32_e32 v10, 0x400, v1
	v_add_f32_e32 v70, v6, v19
	v_add_f32_e32 v6, v33, v19
	s_waitcnt lgkmcnt(0)
	s_barrier
	ds_read2_b32 v[14:15], v10 offset0:104 offset1:194
	v_add_u32_e32 v10, 0xc00, v1
	v_fmac_f32_e32 v29, -0.5, v6
	v_sub_f32_e32 v6, v20, v21
	ds_read2_b32 v[21:22], v10 offset0:132 offset1:222
	v_add_u32_e32 v10, 0x1200, v1
	ds_read2_b32 v[19:20], v10 offset0:108 offset1:198
	v_add_u32_e32 v10, 0x1c00, v1
	;; [unrolled: 2-line block ×8, first 2 shown]
	v_mov_b32_e32 v71, v29
	ds_read2_b32 v[33:34], v10 offset0:80 offset1:170
	v_add_u32_e32 v10, 0x1800, v1
	v_fmac_f32_e32 v71, 0x3f5db3d7, v6
	v_fmac_f32_e32 v29, 0xbf5db3d7, v6
	ds_read2_b32 v[6:7], v1 offset1:90
	ds_read2_b32 v[35:36], v10 offset0:84 offset1:174
	ds_read_b32 v10, v1 offset:8640
	s_waitcnt lgkmcnt(0)
	s_barrier
	ds_write2_b32 v1, v67, v58 offset1:150
	ds_write_b32 v1, v4 offset:1200
	ds_write2_b32 v12, v59, v50 offset1:150
	ds_write_b32 v12, v5 offset:1200
	ds_write2_b32 v41, v52, v60 offset0:96 offset1:246
	ds_write_b32 v66, v51 offset:3120
	ds_write2_b32 v43, v61, v32 offset1:150
	ds_write_b32 v43, v8 offset:1200
	ds_write2_b32 v64, v49, v31 offset0:4 offset1:154
	ds_write_b32 v62, v44 offset:4800
	v_add_u32_e32 v4, 0x1400, v63
	ds_write2_b32 v4, v53, v37 offset0:70 offset1:220
	ds_write_b32 v63, v23 offset:6600
	ds_write2_b32 v13, v42, v69 offset1:150
	ds_write_b32 v13, v38 offset:1200
	v_add_u32_e32 v4, 0x1c00, v65
	ds_write2_b32 v4, v70, v71 offset0:8 offset1:158
	ds_write_b32 v65, v29 offset:8400
	s_and_saveexec_b64 s[2:3], vcc
	s_cbranch_execz .LBB0_33
; %bb.32:
	v_add_f32_e32 v5, v24, v30
	v_add_f32_e32 v4, v68, v24
	v_fmac_f32_e32 v68, -0.5, v5
	v_sub_f32_e32 v5, v9, v18
	v_mov_b32_e32 v8, v68
	v_add_f32_e32 v4, v4, v30
	v_fmac_f32_e32 v8, 0x3f5db3d7, v5
	v_fmac_f32_e32 v68, 0xbf5db3d7, v5
	v_add_u32_e32 v5, 0x1c00, v11
	ds_write2_b32 v5, v4, v8 offset0:8 offset1:158
	ds_write_b32 v11, v68 offset:8400
.LBB0_33:
	s_or_b64 exec, exec, s[2:3]
	s_waitcnt lgkmcnt(0)
	s_barrier
	s_and_saveexec_b64 s[2:3], s[0:1]
	s_cbranch_execz .LBB0_35
; %bb.34:
	v_lshlrev_b32_e32 v4, 2, v55
	v_mov_b32_e32 v5, 0
	v_lshlrev_b64 v[8:9], 3, v[4:5]
	v_mov_b32_e32 v49, s9
	v_add_co_u32_e32 v8, vcc, s8, v8
	v_addc_co_u32_e32 v9, vcc, v49, v9, vcc
	global_load_dwordx4 v[41:44], v[8:9], off offset:3520
	global_load_dwordx4 v[50:53], v[8:9], off offset:3536
	v_add_u32_e32 v4, 0x1200, v1
	v_add_u32_e32 v8, 0xa00, v1
	;; [unrolled: 1-line block ×3, first 2 shown]
	ds_read_b32 v11, v1 offset:8640
	v_add_u32_e32 v12, 0x400, v1
	ds_read2_b32 v[31:32], v4 offset0:108 offset1:198
	ds_read2_b32 v[37:38], v8 offset0:80 offset1:170
	;; [unrolled: 1-line block ×4, first 2 shown]
	v_lshlrev_b32_e32 v4, 2, v56
	v_lshlrev_b64 v[8:9], 3, v[4:5]
	s_movk_i32 s0, 0x1000
	v_add_co_u32_e32 v8, vcc, s8, v8
	v_addc_co_u32_e32 v9, vcc, v49, v9, vcc
	global_load_dwordx4 v[58:61], v[8:9], off offset:3536
	global_load_dwordx4 v[62:65], v[8:9], off offset:3520
	s_mov_b32 s2, 0x91a2b3c5
	s_movk_i32 s1, 0x3000
	s_movk_i32 s3, 0x5a0
	s_waitcnt vmcnt(3)
	v_mul_f32_e32 v8, v34, v42
	v_mul_f32_e32 v4, v19, v44
	s_waitcnt vmcnt(2)
	v_mul_f32_e32 v9, v36, v51
	s_waitcnt lgkmcnt(2)
	v_fma_f32 v8, v41, v38, -v8
	v_mul_f32_e32 v12, v10, v53
	v_mul_f32_e32 v23, v31, v44
	s_waitcnt lgkmcnt(1)
	v_mul_f32_e32 v44, v71, v51
	v_mul_f32_e32 v42, v38, v42
	;; [unrolled: 1-line block ×3, first 2 shown]
	v_fma_f32 v4, v43, v31, -v4
	v_fma_f32 v24, v50, v71, -v9
	s_waitcnt lgkmcnt(0)
	v_add_f32_e32 v38, v8, v29
	v_fma_f32 v31, v52, v11, -v12
	v_fmac_f32_e32 v23, v19, v43
	v_fmac_f32_e32 v51, v10, v52
	v_sub_f32_e32 v9, v4, v8
	v_sub_f32_e32 v12, v8, v4
	v_add_f32_e32 v19, v4, v24
	v_sub_f32_e32 v52, v4, v24
	v_add_f32_e32 v4, v4, v38
	v_fmac_f32_e32 v42, v34, v41
	v_add_f32_e32 v4, v24, v4
	v_sub_f32_e32 v10, v24, v31
	v_sub_f32_e32 v18, v31, v24
	v_add_f32_e32 v24, v31, v4
	v_add_f32_e32 v4, v14, v42
	v_fmac_f32_e32 v44, v36, v50
	v_add_f32_e32 v4, v23, v4
	v_add_f32_e32 v4, v4, v44
	v_sub_f32_e32 v34, v23, v44
	v_sub_f32_e32 v41, v23, v42
	;; [unrolled: 1-line block ×3, first 2 shown]
	v_add_f32_e32 v67, v23, v44
	v_add_f32_e32 v23, v4, v51
	v_add_u32_e32 v4, 0x1000, v1
	v_add_f32_e32 v11, v8, v31
	v_sub_f32_e32 v43, v44, v51
	ds_read2_b32 v[71:72], v4 offset0:56 offset1:146
	v_lshlrev_b32_e32 v4, 2, v54
	v_sub_f32_e32 v36, v42, v51
	v_sub_f32_e32 v50, v8, v31
	v_add_f32_e32 v8, v42, v51
	v_fma_f32 v13, -0.5, v11, v29
	v_fma_f32 v19, -0.5, v19, v29
	v_add_f32_e32 v29, v41, v43
	v_lshlrev_b64 v[41:42], 3, v[4:5]
	v_add_f32_e32 v68, v9, v10
	v_add_f32_e32 v69, v12, v18
	v_fma_f32 v12, -0.5, v8, v14
	v_fma_f32 v18, -0.5, v67, v14
	v_mov_b32_e32 v11, v13
	v_mov_b32_e32 v9, v19
	v_fmac_f32_e32 v13, 0xbf737871, v34
	v_fmac_f32_e32 v19, 0x3f737871, v36
	v_mov_b32_e32 v10, v12
	v_fmac_f32_e32 v11, 0x3f737871, v34
	v_fmac_f32_e32 v9, 0xbf737871, v36
	v_mov_b32_e32 v8, v18
	v_add_co_u32_e32 v41, vcc, s8, v41
	v_sub_f32_e32 v66, v51, v44
	v_fmac_f32_e32 v12, 0x3f737871, v52
	v_fmac_f32_e32 v13, 0x3f167918, v36
	;; [unrolled: 1-line block ×8, first 2 shown]
	v_addc_co_u32_e32 v42, vcc, v49, v42, vcc
	v_add_f32_e32 v38, v53, v66
	v_fmac_f32_e32 v12, 0xbf167918, v50
	v_fmac_f32_e32 v13, 0x3e9e377a, v68
	;; [unrolled: 1-line block ×8, first 2 shown]
	global_load_dwordx4 v[50:53], v[41:42], off offset:3536
	global_load_dwordx4 v[66:69], v[41:42], off offset:3520
	v_fmac_f32_e32 v12, 0x3e9e377a, v29
	v_fmac_f32_e32 v10, 0x3e9e377a, v29
	v_add_u32_e32 v29, 0x1e00, v1
	ds_read2_b32 v[73:74], v29 offset0:60 offset1:150
	s_waitcnt vmcnt(2)
	v_mul_f32_e32 v14, v48, v65
	s_waitcnt lgkmcnt(1)
	v_fma_f32 v4, v64, v72, -v14
	v_mul_f32_e32 v14, v33, v63
	v_mul_f32_e32 v31, v35, v59
	;; [unrolled: 1-line block ×3, first 2 shown]
	v_fma_f32 v14, v62, v37, -v14
	v_fma_f32 v31, v58, v70, -v31
	s_waitcnt lgkmcnt(0)
	v_fma_f32 v41, v60, v74, -v34
	v_sub_f32_e32 v29, v4, v14
	v_sub_f32_e32 v34, v31, v41
	v_add_f32_e32 v29, v29, v34
	v_add_u32_e32 v34, 0x200, v1
	ds_read2_b32 v[75:76], v34 offset0:52 offset1:142
	v_mul_f32_e32 v43, v72, v65
	v_fmac_f32_e32 v43, v48, v64
	v_mul_f32_e32 v48, v70, v59
	v_add_f32_e32 v34, v14, v41
	v_fmac_f32_e32 v8, 0x3e9e377a, v38
	v_fmac_f32_e32 v18, 0x3e9e377a, v38
	;; [unrolled: 1-line block ×3, first 2 shown]
	s_waitcnt lgkmcnt(0)
	v_fma_f32 v38, -0.5, v34, v76
	v_mul_f32_e32 v58, v37, v63
	v_mul_f32_e32 v59, v74, v61
	v_sub_f32_e32 v35, v43, v48
	v_mov_b32_e32 v34, v38
	v_fmac_f32_e32 v58, v33, v62
	v_fmac_f32_e32 v59, v46, v60
	v_fmac_f32_e32 v34, 0x3f737871, v35
	v_sub_f32_e32 v33, v58, v59
	v_fmac_f32_e32 v38, 0xbf737871, v35
	v_fmac_f32_e32 v34, 0xbf167918, v33
	;; [unrolled: 1-line block ×5, first 2 shown]
	v_sub_f32_e32 v29, v14, v4
	v_sub_f32_e32 v36, v41, v31
	v_add_f32_e32 v29, v29, v36
	v_add_f32_e32 v36, v4, v31
	v_fma_f32 v42, -0.5, v36, v76
	v_mov_b32_e32 v36, v42
	v_fmac_f32_e32 v36, 0xbf737871, v33
	v_fmac_f32_e32 v42, 0x3f737871, v33
	;; [unrolled: 1-line block ×6, first 2 shown]
	v_add_f32_e32 v29, v14, v76
	v_add_f32_e32 v29, v4, v29
	;; [unrolled: 1-line block ×4, first 2 shown]
	v_sub_f32_e32 v29, v43, v58
	v_sub_f32_e32 v33, v48, v59
	v_add_f32_e32 v29, v29, v33
	v_add_f32_e32 v33, v58, v59
	v_fma_f32 v37, -0.5, v33, v40
	v_sub_f32_e32 v4, v4, v31
	v_mov_b32_e32 v33, v37
	v_sub_f32_e32 v14, v14, v41
	v_fmac_f32_e32 v33, 0xbf737871, v4
	v_fmac_f32_e32 v37, 0x3f737871, v4
	;; [unrolled: 1-line block ×6, first 2 shown]
	v_sub_f32_e32 v29, v58, v43
	v_sub_f32_e32 v31, v59, v48
	v_add_f32_e32 v29, v29, v31
	v_add_f32_e32 v31, v43, v48
	v_fma_f32 v41, -0.5, v31, v40
	v_mov_b32_e32 v35, v41
	v_fmac_f32_e32 v35, 0x3f737871, v14
	v_fmac_f32_e32 v41, 0xbf737871, v14
	;; [unrolled: 1-line block ×4, first 2 shown]
	v_add_f32_e32 v4, v40, v58
	v_add_f32_e32 v4, v43, v4
	;; [unrolled: 1-line block ×4, first 2 shown]
	s_waitcnt vmcnt(0)
	v_mul_f32_e32 v4, v47, v69
	v_add_u32_e32 v14, 0x800, v1
	ds_read2_b32 v[76:77], v14 offset0:28 offset1:118
	v_fma_f32 v14, v68, v71, -v4
	v_add_u32_e32 v4, 0x1400, v1
	ds_read2_b32 v[78:79], v4 offset0:160 offset1:250
	v_mul_f32_e32 v4, v26, v67
	s_waitcnt lgkmcnt(1)
	v_fma_f32 v31, v66, v77, -v4
	v_mul_f32_e32 v4, v28, v51
	v_mul_f32_e32 v48, v71, v69
	s_waitcnt lgkmcnt(0)
	v_fma_f32 v46, v50, v79, -v4
	v_lshlrev_b32_e32 v4, 2, v57
	v_lshlrev_b64 v[57:58], 3, v[4:5]
	v_mul_f32_e32 v4, v45, v53
	v_fma_f32 v4, v52, v73, -v4
	v_fmac_f32_e32 v35, 0x3e9e377a, v29
	v_fmac_f32_e32 v41, 0x3e9e377a, v29
	v_sub_f32_e32 v29, v14, v31
	v_sub_f32_e32 v40, v46, v4
	v_fmac_f32_e32 v48, v47, v68
	v_mul_f32_e32 v47, v79, v51
	v_add_f32_e32 v40, v29, v40
	v_fmac_f32_e32 v47, v28, v50
	v_add_f32_e32 v29, v31, v4
	v_mul_f32_e32 v50, v77, v67
	v_fma_f32 v29, -0.5, v29, v75
	v_fmac_f32_e32 v50, v26, v66
	v_mul_f32_e32 v26, v73, v53
	v_sub_f32_e32 v28, v48, v47
	v_mov_b32_e32 v68, v29
	v_fmac_f32_e32 v26, v45, v52
	v_add_co_u32_e32 v80, vcc, s8, v57
	v_fmac_f32_e32 v68, 0x3f737871, v28
	v_sub_f32_e32 v45, v50, v26
	v_fmac_f32_e32 v29, 0xbf737871, v28
	v_addc_co_u32_e32 v81, vcc, v49, v58, vcc
	v_fmac_f32_e32 v68, 0xbf167918, v45
	v_fmac_f32_e32 v29, 0x3f167918, v45
	global_load_dwordx4 v[57:60], v[80:81], off offset:3536
	global_load_dwordx4 v[61:64], v[80:81], off offset:3520
	v_fmac_f32_e32 v68, 0x3e9e377a, v40
	v_fmac_f32_e32 v29, 0x3e9e377a, v40
	v_sub_f32_e32 v40, v31, v14
	v_sub_f32_e32 v51, v4, v46
	v_add_f32_e32 v40, v40, v51
	v_add_f32_e32 v51, v14, v46
	v_fma_f32 v66, -0.5, v51, v75
	v_mov_b32_e32 v70, v66
	v_fmac_f32_e32 v70, 0xbf737871, v45
	v_fmac_f32_e32 v66, 0x3f737871, v45
	;; [unrolled: 1-line block ×4, first 2 shown]
	v_add_f32_e32 v28, v31, v75
	v_add_f32_e32 v28, v14, v28
	;; [unrolled: 1-line block ×3, first 2 shown]
	v_fmac_f32_e32 v70, 0x3e9e377a, v40
	v_fmac_f32_e32 v66, 0x3e9e377a, v40
	v_add_f32_e32 v40, v4, v28
	v_sub_f32_e32 v28, v48, v50
	v_sub_f32_e32 v45, v47, v26
	v_add_f32_e32 v45, v28, v45
	v_add_f32_e32 v28, v50, v26
	v_fma_f32 v28, -0.5, v28, v39
	v_sub_f32_e32 v14, v14, v46
	v_mov_b32_e32 v67, v28
	v_sub_f32_e32 v4, v31, v4
	v_fmac_f32_e32 v67, 0xbf737871, v14
	v_fmac_f32_e32 v28, 0x3f737871, v14
	v_fmac_f32_e32 v67, 0x3f167918, v4
	v_fmac_f32_e32 v28, 0xbf167918, v4
	v_fmac_f32_e32 v67, 0x3e9e377a, v45
	v_fmac_f32_e32 v28, 0x3e9e377a, v45
	v_sub_f32_e32 v31, v50, v48
	v_sub_f32_e32 v45, v26, v47
	v_add_f32_e32 v31, v31, v45
	v_add_f32_e32 v45, v48, v47
	v_fma_f32 v65, -0.5, v45, v39
	v_mov_b32_e32 v69, v65
	v_fmac_f32_e32 v69, 0x3f737871, v4
	v_fmac_f32_e32 v65, 0xbf737871, v4
	v_add_f32_e32 v4, v39, v50
	v_add_f32_e32 v4, v48, v4
	;; [unrolled: 1-line block ×4, first 2 shown]
	v_add_u32_e32 v4, 0xc00, v1
	ds_read2_b32 v[71:72], v4 offset0:132 offset1:222
	v_lshlrev_b32_e32 v4, 2, v0
	v_lshlrev_b64 v[45:46], 3, v[4:5]
	v_add_u32_e32 v26, 0x1c00, v1
	v_add_co_u32_e32 v73, vcc, s8, v45
	v_addc_co_u32_e32 v74, vcc, v49, v46, vcc
	global_load_dwordx4 v[45:48], v[73:74], off offset:3536
	global_load_dwordx4 v[49:52], v[73:74], off offset:3520
	ds_read2_b32 v[73:74], v26 offset0:8 offset1:98
	v_fmac_f32_e32 v69, 0x3f167918, v14
	v_fmac_f32_e32 v65, 0xbf167918, v14
	;; [unrolled: 1-line block ×4, first 2 shown]
	v_add_co_u32_e32 v2, vcc, s12, v2
	s_waitcnt vmcnt(3)
	v_mul_f32_e32 v31, v27, v58
	s_waitcnt vmcnt(2)
	v_mul_f32_e32 v4, v22, v64
	s_waitcnt lgkmcnt(1)
	v_fma_f32 v4, v63, v72, -v4
	v_mul_f32_e32 v72, v72, v64
	v_fmac_f32_e32 v72, v22, v63
	ds_read2_b32 v[63:64], v1 offset1:90
	v_mul_f32_e32 v14, v25, v62
	v_mul_f32_e32 v53, v17, v60
	v_fma_f32 v14, v61, v76, -v14
	v_fma_f32 v31, v57, v78, -v31
	s_waitcnt lgkmcnt(1)
	v_fma_f32 v53, v59, v74, -v53
	v_mul_f32_e32 v1, v78, v58
	v_sub_f32_e32 v26, v4, v14
	v_sub_f32_e32 v75, v31, v53
	v_fmac_f32_e32 v1, v27, v57
	v_mul_f32_e32 v27, v76, v62
	v_add_f32_e32 v75, v26, v75
	v_add_f32_e32 v26, v14, v53
	v_fmac_f32_e32 v27, v25, v61
	v_sub_f32_e32 v25, v14, v4
	v_sub_f32_e32 v57, v53, v31
	s_waitcnt lgkmcnt(0)
	v_fma_f32 v26, -0.5, v26, v64
	v_mul_f32_e32 v74, v74, v60
	v_add_f32_e32 v25, v25, v57
	v_add_f32_e32 v57, v4, v31
	v_sub_f32_e32 v22, v72, v1
	v_mov_b32_e32 v58, v26
	v_fmac_f32_e32 v74, v17, v59
	v_fma_f32 v60, -0.5, v57, v64
	v_fmac_f32_e32 v58, 0x3f737871, v22
	v_sub_f32_e32 v17, v27, v74
	v_fmac_f32_e32 v26, 0xbf737871, v22
	v_mov_b32_e32 v62, v60
	v_fmac_f32_e32 v58, 0xbf167918, v17
	v_fmac_f32_e32 v26, 0x3f167918, v17
	;; [unrolled: 1-line block ×4, first 2 shown]
	v_add_f32_e32 v17, v14, v64
	v_add_f32_e32 v17, v4, v17
	;; [unrolled: 1-line block ×3, first 2 shown]
	v_fmac_f32_e32 v58, 0x3e9e377a, v75
	v_fmac_f32_e32 v26, 0x3e9e377a, v75
	;; [unrolled: 1-line block ×4, first 2 shown]
	v_add_f32_e32 v75, v53, v17
	v_sub_f32_e32 v17, v72, v27
	v_sub_f32_e32 v22, v1, v74
	v_add_f32_e32 v17, v17, v22
	v_add_f32_e32 v22, v27, v74
	v_fmac_f32_e32 v62, 0x3e9e377a, v25
	v_fmac_f32_e32 v60, 0x3e9e377a, v25
	v_fma_f32 v25, -0.5, v22, v7
	v_sub_f32_e32 v4, v4, v31
	v_mov_b32_e32 v57, v25
	v_sub_f32_e32 v14, v14, v53
	v_fmac_f32_e32 v57, 0xbf737871, v4
	v_fmac_f32_e32 v25, 0x3f737871, v4
	;; [unrolled: 1-line block ×6, first 2 shown]
	v_sub_f32_e32 v17, v27, v72
	v_sub_f32_e32 v22, v74, v1
	v_add_f32_e32 v17, v17, v22
	v_add_f32_e32 v22, v72, v1
	v_fma_f32 v59, -0.5, v22, v7
	v_mov_b32_e32 v61, v59
	v_fmac_f32_e32 v61, 0x3f737871, v14
	v_fmac_f32_e32 v59, 0xbf737871, v14
	;; [unrolled: 1-line block ×4, first 2 shown]
	v_add_f32_e32 v4, v7, v27
	v_add_f32_e32 v4, v72, v4
	v_add_f32_e32 v1, v4, v1
	v_fmac_f32_e32 v61, 0x3e9e377a, v17
	v_fmac_f32_e32 v59, 0x3e9e377a, v17
	v_add_f32_e32 v74, v1, v74
	s_waitcnt vmcnt(0)
	v_mul_f32_e32 v1, v21, v52
	v_mul_f32_e32 v4, v15, v50
	;; [unrolled: 1-line block ×4, first 2 shown]
	v_fma_f32 v1, v51, v71, -v1
	v_fma_f32 v4, v49, v30, -v4
	;; [unrolled: 1-line block ×4, first 2 shown]
	v_sub_f32_e32 v7, v1, v4
	v_sub_f32_e32 v17, v14, v22
	v_add_f32_e32 v7, v7, v17
	v_mul_f32_e32 v27, v71, v52
	v_mul_f32_e32 v32, v32, v46
	v_add_f32_e32 v17, v4, v22
	v_fmac_f32_e32 v27, v21, v51
	v_fmac_f32_e32 v32, v20, v45
	v_fma_f32 v17, -0.5, v17, v63
	v_mul_f32_e32 v45, v30, v50
	v_mul_f32_e32 v46, v73, v48
	v_sub_f32_e32 v20, v27, v32
	v_mov_b32_e32 v21, v17
	v_fmac_f32_e32 v45, v15, v49
	v_fmac_f32_e32 v46, v16, v47
	;; [unrolled: 1-line block ×3, first 2 shown]
	v_sub_f32_e32 v16, v45, v46
	v_fmac_f32_e32 v17, 0xbf737871, v20
	v_fmac_f32_e32 v21, 0xbf167918, v16
	v_fmac_f32_e32 v17, 0x3f167918, v16
	v_fmac_f32_e32 v21, 0x3e9e377a, v7
	v_fmac_f32_e32 v17, 0x3e9e377a, v7
	v_sub_f32_e32 v7, v4, v1
	v_sub_f32_e32 v15, v22, v14
	v_add_f32_e32 v7, v7, v15
	v_add_f32_e32 v15, v1, v14
	v_fma_f32 v15, -0.5, v15, v63
	v_mov_b32_e32 v31, v15
	v_fmac_f32_e32 v31, 0xbf737871, v16
	v_fmac_f32_e32 v15, 0x3f737871, v16
	;; [unrolled: 1-line block ×6, first 2 shown]
	v_add_f32_e32 v7, v4, v63
	v_sub_f32_e32 v16, v27, v45
	v_sub_f32_e32 v20, v32, v46
	v_add_f32_e32 v7, v1, v7
	v_add_f32_e32 v30, v16, v20
	;; [unrolled: 1-line block ×4, first 2 shown]
	v_fma_f32 v16, -0.5, v16, v6
	v_add_f32_e32 v7, v22, v7
	v_sub_f32_e32 v4, v4, v22
	v_sub_f32_e32 v1, v1, v14
	v_mov_b32_e32 v20, v16
	v_sub_f32_e32 v14, v45, v27
	v_sub_f32_e32 v22, v46, v32
	v_fmac_f32_e32 v20, 0xbf737871, v1
	v_fmac_f32_e32 v16, 0x3f737871, v1
	v_add_f32_e32 v22, v14, v22
	v_add_f32_e32 v14, v27, v32
	v_fmac_f32_e32 v20, 0x3f167918, v4
	v_fmac_f32_e32 v16, 0xbf167918, v4
	v_fma_f32 v14, -0.5, v14, v6
	v_fmac_f32_e32 v20, 0x3e9e377a, v30
	v_fmac_f32_e32 v16, 0x3e9e377a, v30
	v_mov_b32_e32 v30, v14
	v_fmac_f32_e32 v30, 0x3f737871, v4
	v_fmac_f32_e32 v14, 0xbf737871, v4
	v_fmac_f32_e32 v30, 0x3f167918, v1
	v_fmac_f32_e32 v14, 0xbf167918, v1
	v_add_f32_e32 v1, v6, v45
	v_add_f32_e32 v1, v27, v1
	;; [unrolled: 1-line block ×4, first 2 shown]
	v_mov_b32_e32 v1, v5
	v_mov_b32_e32 v4, s13
	v_lshlrev_b64 v[0:1], 3, v[0:1]
	v_addc_co_u32_e32 v3, vcc, v4, v3, vcc
	v_add_co_u32_e32 v0, vcc, v2, v0
	v_addc_co_u32_e32 v1, vcc, v3, v1, vcc
	v_add_co_u32_e32 v2, vcc, s0, v0
	v_addc_co_u32_e32 v3, vcc, 0, v1, vcc
	s_movk_i32 s0, 0x2000
	v_fmac_f32_e32 v14, 0x3e9e377a, v22
	global_store_dwordx2 v[0:1], v[6:7], off
	global_store_dwordx2 v[0:1], v[14:15], off offset:3600
	v_add_co_u32_e32 v6, vcc, s0, v0
	v_mul_hi_u32 v4, v54, s2
	v_addc_co_u32_e32 v7, vcc, 0, v1, vcc
	v_add_co_u32_e32 v14, vcc, s1, v0
	v_fmac_f32_e32 v30, 0x3e9e377a, v22
	v_addc_co_u32_e32 v15, vcc, 0, v1, vcc
	global_store_dwordx2 v[2:3], v[16:17], off offset:3104
	global_store_dwordx2 v[6:7], v[20:21], off offset:2608
	;; [unrolled: 1-line block ×8, first 2 shown]
	v_lshrrev_b32_e32 v2, 8, v4
	v_mul_u32_u24_e32 v4, 0x708, v2
	v_lshlrev_b64 v[2:3], 3, v[4:5]
	v_mul_hi_u32 v4, v56, s2
	v_add_co_u32_e32 v2, vcc, v0, v2
	v_addc_co_u32_e32 v3, vcc, v1, v3, vcc
	v_add_co_u32_e32 v6, vcc, s3, v2
	v_addc_co_u32_e32 v7, vcc, 0, v3, vcc
	global_store_dwordx2 v[2:3], v[39:40], off offset:1440
	global_store_dwordx2 v[6:7], v[65:66], off offset:3600
	v_add_co_u32_e32 v6, vcc, s0, v2
	v_addc_co_u32_e32 v7, vcc, 0, v3, vcc
	v_add_co_u32_e32 v2, vcc, s1, v2
	v_addc_co_u32_e32 v3, vcc, 0, v3, vcc
	global_store_dwordx2 v[6:7], v[28:29], off offset:448
	global_store_dwordx2 v[6:7], v[67:68], off offset:4048
	global_store_dwordx2 v[2:3], v[69:70], off offset:3552
	v_lshrrev_b32_e32 v2, 8, v4
	v_mul_u32_u24_e32 v4, 0x708, v2
	v_lshlrev_b64 v[2:3], 3, v[4:5]
	s_movk_i32 s3, 0x870
	v_add_co_u32_e32 v2, vcc, v0, v2
	v_addc_co_u32_e32 v3, vcc, v1, v3, vcc
	v_add_co_u32_e32 v6, vcc, s3, v2
	v_addc_co_u32_e32 v7, vcc, 0, v3, vcc
	global_store_dwordx2 v[2:3], v[43:44], off offset:2160
	global_store_dwordx2 v[6:7], v[41:42], off offset:3600
	v_add_co_u32_e32 v6, vcc, s0, v2
	v_addc_co_u32_e32 v7, vcc, 0, v3, vcc
	global_store_dwordx2 v[6:7], v[37:38], off offset:1168
	v_add_co_u32_e32 v6, vcc, s1, v2
	v_mul_hi_u32 v4, v55, s2
	v_addc_co_u32_e32 v7, vcc, 0, v3, vcc
	s_movk_i32 s1, 0x4000
	v_add_co_u32_e32 v2, vcc, s1, v2
	v_addc_co_u32_e32 v3, vcc, 0, v3, vcc
	global_store_dwordx2 v[2:3], v[35:36], off offset:176
	v_lshrrev_b32_e32 v2, 8, v4
	v_mul_u32_u24_e32 v4, 0x708, v2
	v_lshlrev_b64 v[2:3], 3, v[4:5]
	s_movk_i32 s1, 0xb40
	v_add_co_u32_e32 v0, vcc, v0, v2
	v_addc_co_u32_e32 v1, vcc, v1, v3, vcc
	v_add_co_u32_e32 v2, vcc, s1, v0
	v_addc_co_u32_e32 v3, vcc, 0, v1, vcc
	global_store_dwordx2 v[6:7], v[33:34], off offset:672
	global_store_dwordx2 v[0:1], v[23:24], off offset:2880
	;; [unrolled: 1-line block ×3, first 2 shown]
	v_add_co_u32_e32 v2, vcc, s0, v0
	v_addc_co_u32_e32 v3, vcc, 0, v1, vcc
	global_store_dwordx2 v[2:3], v[12:13], off offset:1888
	v_add_co_u32_e32 v2, vcc, 0x3000, v0
	v_addc_co_u32_e32 v3, vcc, 0, v1, vcc
	v_add_co_u32_e32 v0, vcc, 0x4000, v0
	v_addc_co_u32_e32 v1, vcc, 0, v1, vcc
	global_store_dwordx2 v[2:3], v[10:11], off offset:1392
	global_store_dwordx2 v[0:1], v[8:9], off offset:896
.LBB0_35:
	s_endpgm
	.section	.rodata,"a",@progbits
	.p2align	6, 0x0
	.amdhsa_kernel fft_rtc_back_len2250_factors_10_3_5_3_5_wgs_90_tpt_90_halfLds_sp_ip_CI_unitstride_sbrr_dirReg
		.amdhsa_group_segment_fixed_size 0
		.amdhsa_private_segment_fixed_size 0
		.amdhsa_kernarg_size 88
		.amdhsa_user_sgpr_count 6
		.amdhsa_user_sgpr_private_segment_buffer 1
		.amdhsa_user_sgpr_dispatch_ptr 0
		.amdhsa_user_sgpr_queue_ptr 0
		.amdhsa_user_sgpr_kernarg_segment_ptr 1
		.amdhsa_user_sgpr_dispatch_id 0
		.amdhsa_user_sgpr_flat_scratch_init 0
		.amdhsa_user_sgpr_private_segment_size 0
		.amdhsa_uses_dynamic_stack 0
		.amdhsa_system_sgpr_private_segment_wavefront_offset 0
		.amdhsa_system_sgpr_workgroup_id_x 1
		.amdhsa_system_sgpr_workgroup_id_y 0
		.amdhsa_system_sgpr_workgroup_id_z 0
		.amdhsa_system_sgpr_workgroup_info 0
		.amdhsa_system_vgpr_workitem_id 0
		.amdhsa_next_free_vgpr 133
		.amdhsa_next_free_sgpr 22
		.amdhsa_reserve_vcc 1
		.amdhsa_reserve_flat_scratch 0
		.amdhsa_float_round_mode_32 0
		.amdhsa_float_round_mode_16_64 0
		.amdhsa_float_denorm_mode_32 3
		.amdhsa_float_denorm_mode_16_64 3
		.amdhsa_dx10_clamp 1
		.amdhsa_ieee_mode 1
		.amdhsa_fp16_overflow 0
		.amdhsa_exception_fp_ieee_invalid_op 0
		.amdhsa_exception_fp_denorm_src 0
		.amdhsa_exception_fp_ieee_div_zero 0
		.amdhsa_exception_fp_ieee_overflow 0
		.amdhsa_exception_fp_ieee_underflow 0
		.amdhsa_exception_fp_ieee_inexact 0
		.amdhsa_exception_int_div_zero 0
	.end_amdhsa_kernel
	.text
.Lfunc_end0:
	.size	fft_rtc_back_len2250_factors_10_3_5_3_5_wgs_90_tpt_90_halfLds_sp_ip_CI_unitstride_sbrr_dirReg, .Lfunc_end0-fft_rtc_back_len2250_factors_10_3_5_3_5_wgs_90_tpt_90_halfLds_sp_ip_CI_unitstride_sbrr_dirReg
                                        ; -- End function
	.section	.AMDGPU.csdata,"",@progbits
; Kernel info:
; codeLenInByte = 15800
; NumSgprs: 26
; NumVgprs: 133
; ScratchSize: 0
; MemoryBound: 0
; FloatMode: 240
; IeeeMode: 1
; LDSByteSize: 0 bytes/workgroup (compile time only)
; SGPRBlocks: 3
; VGPRBlocks: 33
; NumSGPRsForWavesPerEU: 26
; NumVGPRsForWavesPerEU: 133
; Occupancy: 1
; WaveLimiterHint : 1
; COMPUTE_PGM_RSRC2:SCRATCH_EN: 0
; COMPUTE_PGM_RSRC2:USER_SGPR: 6
; COMPUTE_PGM_RSRC2:TRAP_HANDLER: 0
; COMPUTE_PGM_RSRC2:TGID_X_EN: 1
; COMPUTE_PGM_RSRC2:TGID_Y_EN: 0
; COMPUTE_PGM_RSRC2:TGID_Z_EN: 0
; COMPUTE_PGM_RSRC2:TIDIG_COMP_CNT: 0
	.type	__hip_cuid_ee1d320e4ddefcc9,@object ; @__hip_cuid_ee1d320e4ddefcc9
	.section	.bss,"aw",@nobits
	.globl	__hip_cuid_ee1d320e4ddefcc9
__hip_cuid_ee1d320e4ddefcc9:
	.byte	0                               ; 0x0
	.size	__hip_cuid_ee1d320e4ddefcc9, 1

	.ident	"AMD clang version 19.0.0git (https://github.com/RadeonOpenCompute/llvm-project roc-6.4.0 25133 c7fe45cf4b819c5991fe208aaa96edf142730f1d)"
	.section	".note.GNU-stack","",@progbits
	.addrsig
	.addrsig_sym __hip_cuid_ee1d320e4ddefcc9
	.amdgpu_metadata
---
amdhsa.kernels:
  - .args:
      - .actual_access:  read_only
        .address_space:  global
        .offset:         0
        .size:           8
        .value_kind:     global_buffer
      - .offset:         8
        .size:           8
        .value_kind:     by_value
      - .actual_access:  read_only
        .address_space:  global
        .offset:         16
        .size:           8
        .value_kind:     global_buffer
      - .actual_access:  read_only
        .address_space:  global
        .offset:         24
        .size:           8
        .value_kind:     global_buffer
      - .offset:         32
        .size:           8
        .value_kind:     by_value
      - .actual_access:  read_only
        .address_space:  global
        .offset:         40
        .size:           8
        .value_kind:     global_buffer
      - .actual_access:  read_only
        .address_space:  global
        .offset:         48
        .size:           8
        .value_kind:     global_buffer
      - .offset:         56
        .size:           4
        .value_kind:     by_value
      - .actual_access:  read_only
        .address_space:  global
        .offset:         64
        .size:           8
        .value_kind:     global_buffer
      - .actual_access:  read_only
        .address_space:  global
        .offset:         72
        .size:           8
        .value_kind:     global_buffer
      - .address_space:  global
        .offset:         80
        .size:           8
        .value_kind:     global_buffer
    .group_segment_fixed_size: 0
    .kernarg_segment_align: 8
    .kernarg_segment_size: 88
    .language:       OpenCL C
    .language_version:
      - 2
      - 0
    .max_flat_workgroup_size: 90
    .name:           fft_rtc_back_len2250_factors_10_3_5_3_5_wgs_90_tpt_90_halfLds_sp_ip_CI_unitstride_sbrr_dirReg
    .private_segment_fixed_size: 0
    .sgpr_count:     26
    .sgpr_spill_count: 0
    .symbol:         fft_rtc_back_len2250_factors_10_3_5_3_5_wgs_90_tpt_90_halfLds_sp_ip_CI_unitstride_sbrr_dirReg.kd
    .uniform_work_group_size: 1
    .uses_dynamic_stack: false
    .vgpr_count:     133
    .vgpr_spill_count: 0
    .wavefront_size: 64
amdhsa.target:   amdgcn-amd-amdhsa--gfx906
amdhsa.version:
  - 1
  - 2
...

	.end_amdgpu_metadata
